;; amdgpu-corpus repo=ggml-org/llama.cpp kind=compiled arch=gfx1250 opt=O3
	.amdgcn_target "amdgcn-amd-amdhsa--gfx1250"
	.amdhsa_code_object_version 6
	.section	.text._Z20gated_delta_net_cudaILi16ELb1ELb1EEvPKfS1_S1_S1_S1_S1_Pfllllllllllll15HIP_vector_typeIjLj3EES4_fi,"axG",@progbits,_Z20gated_delta_net_cudaILi16ELb1ELb1EEvPKfS1_S1_S1_S1_S1_Pfllllllllllll15HIP_vector_typeIjLj3EES4_fi,comdat
	.protected	_Z20gated_delta_net_cudaILi16ELb1ELb1EEvPKfS1_S1_S1_S1_S1_Pfllllllllllll15HIP_vector_typeIjLj3EES4_fi ; -- Begin function _Z20gated_delta_net_cudaILi16ELb1ELb1EEvPKfS1_S1_S1_S1_S1_Pfllllllllllll15HIP_vector_typeIjLj3EES4_fi
	.globl	_Z20gated_delta_net_cudaILi16ELb1ELb1EEvPKfS1_S1_S1_S1_S1_Pfllllllllllll15HIP_vector_typeIjLj3EES4_fi
	.p2align	8
	.type	_Z20gated_delta_net_cudaILi16ELb1ELb1EEvPKfS1_S1_S1_S1_S1_Pfllllllllllll15HIP_vector_typeIjLj3EES4_fi,@function
_Z20gated_delta_net_cudaILi16ELb1ELb1EEvPKfS1_S1_S1_S1_S1_Pfllllllllllll15HIP_vector_typeIjLj3EES4_fi: ; @_Z20gated_delta_net_cudaILi16ELb1ELb1EEvPKfS1_S1_S1_S1_S1_Pfllllllllllll15HIP_vector_typeIjLj3EES4_fi
; %bb.0:
	s_load_b512 s[4:19], s[0:1], 0x40
	s_wait_kmcnt 0x0
	v_cmp_lt_i64_e64 s2, s[4:5], 1
	s_and_b32 vcc_lo, exec_lo, s2
	s_cbranch_vccnz .LBB0_7
; %bb.1:
	s_bfe_u32 s2, ttmp6, 0x4000c
	s_load_u16 s3, s[0:1], 0xc6
	s_add_co_i32 s2, s2, 1
	s_and_b32 s20, ttmp6, 15
	s_mul_i32 s2, ttmp9, s2
	s_getreg_b32 s22, hwreg(HW_REG_IB_STS2, 6, 4)
	s_add_co_i32 s20, s20, s2
	s_cmp_eq_u32 s22, 0
	s_load_b512 s[36:51], s[0:1], 0x0
	s_cselect_b32 s24, ttmp9, s20
	s_bfe_u32 s2, ttmp6, 0x40014
	s_lshr_b32 s20, ttmp7, 16
	s_add_co_i32 s2, s2, 1
	s_bfe_u32 s21, ttmp6, 0x40008
	s_mul_i32 s2, s20, s2
	v_bfe_u32 v1, v0, 10, 10
	s_add_co_i32 s21, s21, s2
	s_cmp_eq_u32 s22, 0
	v_and_b32_e32 v8, 0x3ff, v0
	s_cselect_b32 s2, s20, s21
	s_and_b32 s20, ttmp7, 0xffff
	s_wait_kmcnt 0x0
	v_mad_u32 v2, s2, s3, v1
	s_bfe_u32 s2, ttmp6, 0x40010
	s_bfe_u32 s3, ttmp6, 0x40004
	s_add_co_i32 s2, s2, 1
	s_mov_b32 s21, 0
	s_mul_i32 s2, s20, s2
	s_mov_b32 s25, s21
	s_add_co_i32 s2, s3, s2
	s_cmp_eq_u32 s22, 0
	s_mov_b32 s3, s21
	s_cselect_b32 s20, s20, s2
	v_dual_lshlrev_b32 v4, 4, v2 :: v_dual_lshlrev_b32 v0, 2, v8
	s_mul_u64 s[34:35], s[50:51], s[20:21]
	s_lshl_b32 s2, s24, 8
	s_lshl_b64 s[22:23], s[34:35], 10
	s_delay_alu instid0(VALU_DEP_1)
	v_dual_ashrrev_i32 v5, 31, v4 :: v_dual_mov_b32 v1, 0
	s_lshl_b64 s[2:3], s[2:3], 2
	s_add_nc_u64 s[22:23], s[46:47], s[22:23]
	s_mul_u64 s[18:19], s[18:19], s[20:21]
	s_add_nc_u64 s[2:3], s[22:23], s[2:3]
	s_mul_u64 s[6:7], s[50:51], s[6:7]
	v_lshl_add_u64 v[6:7], v[4:5], 2, s[2:3]
	v_mbcnt_lo_u32_b32 v5, -1, 0
	s_lshl_b64 s[18:19], s[18:19], 2
	s_mul_u64 s[14:15], s[14:15], s[24:25]
	s_mul_u64 s[52:53], s[6:7], s[4:5]
	v_add_nc_u64_e32 v[6:7], v[6:7], v[0:1]
	v_xor_b32_e32 v10, 2, v5
	s_add_nc_u64 s[18:19], s[40:41], s[18:19]
	s_lshl_b64 s[14:15], s[14:15], 2
	s_mul_u64 s[26:27], s[34:35], s[4:5]
	s_add_nc_u64 s[34:35], s[34:35], s[24:25]
	s_lshl_b64 s[52:53], s[52:53], 6
	global_load_b32 v12, v[6:7], off
	s_wait_xcnt 0x0
	v_xor_b32_e32 v7, 4, v5
	v_and_b32_e32 v3, 16, v5
	s_clause 0x3
	s_load_b128 s[28:31], s[0:1], 0x98
	s_load_b32 s33, s[0:1], 0xa8
	s_load_b64 s[22:23], s[0:1], 0xb0
	s_load_b64 s[46:47], s[0:1], 0x90
	s_wait_xcnt 0x0
	s_load_b128 s[0:3], s[0:1], 0x80
	s_add_nc_u64 s[14:15], s[18:19], s[14:15]
	s_add_nc_u64 s[26:27], s[26:27], s[24:25]
	v_dual_add_nc_u32 v6, 16, v3 :: v_dual_bitop2_b32 v3, 8, v5 bitop3:0x14
	s_add_nc_u64 s[52:53], s[48:49], s[52:53]
	s_lshl_b64 s[26:27], s[26:27], 6
	s_lshl_b64 s[6:7], s[6:7], 8
	v_add_nc_u32_e32 v4, v4, v8
	v_cmp_lt_i32_e32 vcc_lo, v3, v6
	v_cndmask_b32_e32 v9, v5, v3, vcc_lo
	v_cmp_lt_i32_e32 vcc_lo, v7, v6
	v_ashrrev_i32_e32 v3, 31, v2
	s_wait_kmcnt 0x0
	s_mul_hi_u32 s28, s28, s24
	s_mul_hi_u32 s31, s31, s20
	s_add_co_i32 s28, s24, s28
	v_cndmask_b32_e32 v7, v5, v7, vcc_lo
	v_cmp_lt_i32_e32 vcc_lo, v10, v6
	v_xor_b32_e32 v13, 1, v5
	s_lshr_b32 s28, s28, s29
	s_add_co_i32 s29, s20, s31
	s_mul_i32 s30, s28, s30
	v_cndmask_b32_e32 v15, v5, v10, vcc_lo
	v_cmp_lt_i32_e32 vcc_lo, v13, v6
	v_lshlrev_b64_e32 v[10:11], 2, v[2:3]
	v_lshlrev_b32_e32 v14, 2, v7
	s_lshr_b32 s28, s29, s33
	s_sub_co_i32 s30, s24, s30
	v_cndmask_b32_e32 v2, v5, v13, vcc_lo
	s_mov_b32 s29, s21
	s_mov_b32 s31, s21
	s_mul_u64 s[12:13], s[12:13], s[28:29]
	s_mul_u64 s[8:9], s[8:9], s[30:31]
	v_dual_lshlrev_b32 v16, 2, v2 :: v_dual_ashrrev_i32 v5, 31, v4
	s_mul_u64 s[18:19], s[46:47], s[20:21]
	s_mul_u64 s[24:25], s[0:1], s[24:25]
	v_add_nc_u64_e32 v[2:3], s[14:15], v[10:11]
	s_lshl_b64 s[14:15], s[34:35], 10
	s_lshl_b64 s[12:13], s[12:13], 2
	;; [unrolled: 1-line block ×3, first 2 shown]
	s_add_nc_u64 s[14:15], s[52:53], s[14:15]
	s_add_nc_u64 s[8:9], s[12:13], s[8:9]
	;; [unrolled: 1-line block ×3, first 2 shown]
	v_lshl_add_u64 v[4:5], v[4:5], 2, s[14:15]
	s_lshl_b64 s[14:15], s[12:13], 6
	v_add_nc_u64_e32 v[6:7], s[8:9], v[0:1]
	s_lshl_b64 s[8:9], s[10:11], 2
	s_lshl_b64 s[10:11], s[16:17], 2
	s_add_nc_u64 s[14:15], s[42:43], s[14:15]
	s_add_nc_u64 s[16:17], s[48:49], s[26:27]
	v_dual_lshlrev_b32 v13, 2, v9 :: v_dual_lshlrev_b32 v15, 2, v15
	v_cmp_eq_u32_e64 s0, 0, v8
	v_add_nc_u64_e32 v[8:9], s[14:15], v[0:1]
	v_add_nc_u64_e32 v[10:11], s[16:17], v[10:11]
	s_lshl_b64 s[12:13], s[12:13], 2
	s_add_co_i32 s20, s4, -1
	s_add_nc_u64 s[12:13], s[44:45], s[12:13]
	s_lshl_b64 s[14:15], s[2:3], 2
	s_lshl_b64 s[2:3], s[2:3], 6
	;; [unrolled: 1-line block ×3, first 2 shown]
	s_mov_b64 s[18:19], 0
	s_branch .LBB0_3
.LBB0_2:                                ;   in Loop: Header=BB0_3 Depth=1
	s_add_nc_u64 s[18:19], s[18:19], 1
	v_add_nc_u64_e32 v[6:7], s[8:9], v[6:7]
	v_cmp_le_i64_e64 s1, s[4:5], s[18:19]
	v_add_nc_u64_e32 v[2:3], s[10:11], v[2:3]
	v_add_nc_u64_e32 v[8:9], s[2:3], v[8:9]
	;; [unrolled: 1-line block ×3, first 2 shown]
	s_add_co_i32 s20, s20, -1
	s_add_nc_u64 s[12:13], s[12:13], s[14:15]
	s_and_b32 vcc_lo, exec_lo, s1
	s_cbranch_vccnz .LBB0_7
.LBB0_3:                                ; =>This Inner Loop Header: Depth=1
	global_load_b32 v0, v[8:9], off
	s_wait_xcnt 0x1
	v_add_nc_u64_e32 v[18:19], s[38:39], v[6:7]
	s_wait_dscnt 0x0
	global_load_b32 v17, v[18:19], off
	global_load_b32 v20, v[2:3], off
	global_load_b32 v21, v1, s[12:13]
	s_wait_xcnt 0x2
	v_add_nc_u64_e32 v[18:19], s[36:37], v[6:7]
	global_load_b32 v18, v[18:19], off
	s_wait_loadcnt 0x4
	s_wait_xcnt 0x0
	v_mul_f32_e32 v19, 0x3fb8aa3b, v0
	v_cmp_ngt_f32_e32 vcc_lo, 0xc2ce8ed0, v0
	s_delay_alu instid0(VALU_DEP_2) | instskip(SKIP_1) | instid1(VALU_DEP_2)
	v_rndne_f32_e32 v22, v19
	v_fma_f32 v23, 0x3fb8aa3b, v0, -v19
	v_sub_f32_e32 v19, v19, v22
	s_delay_alu instid0(VALU_DEP_2) | instskip(SKIP_1) | instid1(VALU_DEP_2)
	v_fmac_f32_e32 v23, 0x32a5705f, v0
	v_cvt_i32_f32_e32 v22, v22
	v_add_f32_e32 v19, v19, v23
	s_delay_alu instid0(VALU_DEP_1) | instskip(SKIP_1) | instid1(TRANS32_DEP_1)
	v_exp_f32_e32 v19, v19
	v_nop
	v_ldexp_f32 v19, v19, v22
	s_delay_alu instid0(VALU_DEP_1) | instskip(SKIP_1) | instid1(VALU_DEP_2)
	v_cndmask_b32_e32 v19, 0, v19, vcc_lo
	v_cmp_nlt_f32_e32 vcc_lo, 0x42b17218, v0
	v_cndmask_b32_e32 v0, 0x7f800000, v19, vcc_lo
	s_delay_alu instid0(VALU_DEP_1) | instskip(SKIP_1) | instid1(VALU_DEP_1)
	v_mul_f32_e32 v12, v12, v0
	s_wait_loadcnt 0x3
	v_fma_f32 v0, v17, v12, 0
	ds_bpermute_b32 v19, v13, v0
	s_wait_dscnt 0x0
	v_add_f32_e32 v0, v0, v19
	ds_bpermute_b32 v19, v14, v0
	s_wait_dscnt 0x0
	v_add_f32_e32 v0, v0, v19
	;; [unrolled: 3-line block ×4, first 2 shown]
	s_wait_loadcnt 0x2
	s_delay_alu instid0(VALU_DEP_1) | instskip(SKIP_1) | instid1(VALU_DEP_1)
	v_sub_f32_e32 v0, v20, v0
	s_wait_loadcnt 0x1
	v_mul_f32_e32 v0, v21, v0
	s_delay_alu instid0(VALU_DEP_1) | instskip(SKIP_1) | instid1(VALU_DEP_1)
	v_fmac_f32_e32 v12, v17, v0
	s_wait_loadcnt 0x0
	v_fma_f32 v0, v18, v12, 0
	ds_bpermute_b32 v17, v13, v0
	s_wait_dscnt 0x0
	v_add_f32_e32 v0, v0, v17
	ds_bpermute_b32 v17, v14, v0
	s_wait_dscnt 0x0
	v_add_f32_e32 v0, v0, v17
	ds_bpermute_b32 v17, v15, v0
	s_wait_dscnt 0x0
	v_add_f32_e32 v0, v0, v17
	ds_bpermute_b32 v17, v16, v0
	s_and_saveexec_b32 s1, s0
	s_cbranch_execz .LBB0_5
; %bb.4:                                ;   in Loop: Header=BB0_3 Depth=1
	s_wait_dscnt 0x0
	v_add_f32_e32 v0, v0, v17
	s_delay_alu instid0(VALU_DEP_1)
	v_mul_f32_e32 v0, s22, v0
	global_store_b32 v[10:11], v0, off
.LBB0_5:                                ;   in Loop: Header=BB0_3 Depth=1
	s_wait_xcnt 0x0
	s_or_b32 exec_lo, exec_lo, s1
	s_cmp_lt_i32 s20, 0
	s_cselect_b32 s1, -1, 0
	s_cmp_ge_i32 s20, s23
	s_cselect_b32 s24, -1, 0
	s_delay_alu instid0(SALU_CYCLE_1) | instskip(NEXT) | instid1(SALU_CYCLE_1)
	s_or_b32 s1, s1, s24
	s_and_b32 vcc_lo, exec_lo, s1
	s_cbranch_vccnz .LBB0_2
; %bb.6:                                ;   in Loop: Header=BB0_3 Depth=1
	s_mul_u64 s[24:25], s[6:7], s[20:21]
	s_delay_alu instid0(SALU_CYCLE_1)
	v_lshl_add_u64 v[18:19], s[24:25], 2, v[4:5]
	global_store_b32 v[18:19], v12, off
	s_branch .LBB0_2
.LBB0_7:
	s_endpgm
	.section	.rodata,"a",@progbits
	.p2align	6, 0x0
	.amdhsa_kernel _Z20gated_delta_net_cudaILi16ELb1ELb1EEvPKfS1_S1_S1_S1_S1_Pfllllllllllll15HIP_vector_typeIjLj3EES4_fi
		.amdhsa_group_segment_fixed_size 0
		.amdhsa_private_segment_fixed_size 0
		.amdhsa_kernarg_size 440
		.amdhsa_user_sgpr_count 2
		.amdhsa_user_sgpr_dispatch_ptr 0
		.amdhsa_user_sgpr_queue_ptr 0
		.amdhsa_user_sgpr_kernarg_segment_ptr 1
		.amdhsa_user_sgpr_dispatch_id 0
		.amdhsa_user_sgpr_kernarg_preload_length 0
		.amdhsa_user_sgpr_kernarg_preload_offset 0
		.amdhsa_user_sgpr_private_segment_size 0
		.amdhsa_wavefront_size32 1
		.amdhsa_uses_dynamic_stack 0
		.amdhsa_enable_private_segment 0
		.amdhsa_system_sgpr_workgroup_id_x 1
		.amdhsa_system_sgpr_workgroup_id_y 1
		.amdhsa_system_sgpr_workgroup_id_z 1
		.amdhsa_system_sgpr_workgroup_info 0
		.amdhsa_system_vgpr_workitem_id 1
		.amdhsa_next_free_vgpr 24
		.amdhsa_next_free_sgpr 54
		.amdhsa_named_barrier_count 0
		.amdhsa_reserve_vcc 1
		.amdhsa_float_round_mode_32 0
		.amdhsa_float_round_mode_16_64 0
		.amdhsa_float_denorm_mode_32 3
		.amdhsa_float_denorm_mode_16_64 3
		.amdhsa_fp16_overflow 0
		.amdhsa_memory_ordered 1
		.amdhsa_forward_progress 1
		.amdhsa_inst_pref_size 10
		.amdhsa_round_robin_scheduling 0
		.amdhsa_exception_fp_ieee_invalid_op 0
		.amdhsa_exception_fp_denorm_src 0
		.amdhsa_exception_fp_ieee_div_zero 0
		.amdhsa_exception_fp_ieee_overflow 0
		.amdhsa_exception_fp_ieee_underflow 0
		.amdhsa_exception_fp_ieee_inexact 0
		.amdhsa_exception_int_div_zero 0
	.end_amdhsa_kernel
	.section	.text._Z20gated_delta_net_cudaILi16ELb1ELb1EEvPKfS1_S1_S1_S1_S1_Pfllllllllllll15HIP_vector_typeIjLj3EES4_fi,"axG",@progbits,_Z20gated_delta_net_cudaILi16ELb1ELb1EEvPKfS1_S1_S1_S1_S1_Pfllllllllllll15HIP_vector_typeIjLj3EES4_fi,comdat
.Lfunc_end0:
	.size	_Z20gated_delta_net_cudaILi16ELb1ELb1EEvPKfS1_S1_S1_S1_S1_Pfllllllllllll15HIP_vector_typeIjLj3EES4_fi, .Lfunc_end0-_Z20gated_delta_net_cudaILi16ELb1ELb1EEvPKfS1_S1_S1_S1_S1_Pfllllllllllll15HIP_vector_typeIjLj3EES4_fi
                                        ; -- End function
	.set _Z20gated_delta_net_cudaILi16ELb1ELb1EEvPKfS1_S1_S1_S1_S1_Pfllllllllllll15HIP_vector_typeIjLj3EES4_fi.num_vgpr, 24
	.set _Z20gated_delta_net_cudaILi16ELb1ELb1EEvPKfS1_S1_S1_S1_S1_Pfllllllllllll15HIP_vector_typeIjLj3EES4_fi.num_agpr, 0
	.set _Z20gated_delta_net_cudaILi16ELb1ELb1EEvPKfS1_S1_S1_S1_S1_Pfllllllllllll15HIP_vector_typeIjLj3EES4_fi.numbered_sgpr, 54
	.set _Z20gated_delta_net_cudaILi16ELb1ELb1EEvPKfS1_S1_S1_S1_S1_Pfllllllllllll15HIP_vector_typeIjLj3EES4_fi.num_named_barrier, 0
	.set _Z20gated_delta_net_cudaILi16ELb1ELb1EEvPKfS1_S1_S1_S1_S1_Pfllllllllllll15HIP_vector_typeIjLj3EES4_fi.private_seg_size, 0
	.set _Z20gated_delta_net_cudaILi16ELb1ELb1EEvPKfS1_S1_S1_S1_S1_Pfllllllllllll15HIP_vector_typeIjLj3EES4_fi.uses_vcc, 1
	.set _Z20gated_delta_net_cudaILi16ELb1ELb1EEvPKfS1_S1_S1_S1_S1_Pfllllllllllll15HIP_vector_typeIjLj3EES4_fi.uses_flat_scratch, 0
	.set _Z20gated_delta_net_cudaILi16ELb1ELb1EEvPKfS1_S1_S1_S1_S1_Pfllllllllllll15HIP_vector_typeIjLj3EES4_fi.has_dyn_sized_stack, 0
	.set _Z20gated_delta_net_cudaILi16ELb1ELb1EEvPKfS1_S1_S1_S1_S1_Pfllllllllllll15HIP_vector_typeIjLj3EES4_fi.has_recursion, 0
	.set _Z20gated_delta_net_cudaILi16ELb1ELb1EEvPKfS1_S1_S1_S1_S1_Pfllllllllllll15HIP_vector_typeIjLj3EES4_fi.has_indirect_call, 0
	.section	.AMDGPU.csdata,"",@progbits
; Kernel info:
; codeLenInByte = 1196
; TotalNumSgprs: 56
; NumVgprs: 24
; ScratchSize: 0
; MemoryBound: 0
; FloatMode: 240
; IeeeMode: 1
; LDSByteSize: 0 bytes/workgroup (compile time only)
; SGPRBlocks: 0
; VGPRBlocks: 1
; NumSGPRsForWavesPerEU: 56
; NumVGPRsForWavesPerEU: 24
; NamedBarCnt: 0
; Occupancy: 16
; WaveLimiterHint : 1
; COMPUTE_PGM_RSRC2:SCRATCH_EN: 0
; COMPUTE_PGM_RSRC2:USER_SGPR: 2
; COMPUTE_PGM_RSRC2:TRAP_HANDLER: 0
; COMPUTE_PGM_RSRC2:TGID_X_EN: 1
; COMPUTE_PGM_RSRC2:TGID_Y_EN: 1
; COMPUTE_PGM_RSRC2:TGID_Z_EN: 1
; COMPUTE_PGM_RSRC2:TIDIG_COMP_CNT: 1
	.section	.text._Z20gated_delta_net_cudaILi32ELb1ELb1EEvPKfS1_S1_S1_S1_S1_Pfllllllllllll15HIP_vector_typeIjLj3EES4_fi,"axG",@progbits,_Z20gated_delta_net_cudaILi32ELb1ELb1EEvPKfS1_S1_S1_S1_S1_Pfllllllllllll15HIP_vector_typeIjLj3EES4_fi,comdat
	.protected	_Z20gated_delta_net_cudaILi32ELb1ELb1EEvPKfS1_S1_S1_S1_S1_Pfllllllllllll15HIP_vector_typeIjLj3EES4_fi ; -- Begin function _Z20gated_delta_net_cudaILi32ELb1ELb1EEvPKfS1_S1_S1_S1_S1_Pfllllllllllll15HIP_vector_typeIjLj3EES4_fi
	.globl	_Z20gated_delta_net_cudaILi32ELb1ELb1EEvPKfS1_S1_S1_S1_S1_Pfllllllllllll15HIP_vector_typeIjLj3EES4_fi
	.p2align	8
	.type	_Z20gated_delta_net_cudaILi32ELb1ELb1EEvPKfS1_S1_S1_S1_S1_Pfllllllllllll15HIP_vector_typeIjLj3EES4_fi,@function
_Z20gated_delta_net_cudaILi32ELb1ELb1EEvPKfS1_S1_S1_S1_S1_Pfllllllllllll15HIP_vector_typeIjLj3EES4_fi: ; @_Z20gated_delta_net_cudaILi32ELb1ELb1EEvPKfS1_S1_S1_S1_S1_Pfllllllllllll15HIP_vector_typeIjLj3EES4_fi
; %bb.0:
	s_load_b512 s[4:19], s[0:1], 0x40
	s_wait_kmcnt 0x0
	v_cmp_lt_i64_e64 s2, s[4:5], 1
	s_and_b32 vcc_lo, exec_lo, s2
	s_cbranch_vccnz .LBB1_7
; %bb.1:
	s_bfe_u32 s2, ttmp6, 0x4000c
	s_load_u16 s3, s[0:1], 0xc6
	s_add_co_i32 s2, s2, 1
	s_and_b32 s20, ttmp6, 15
	s_mul_i32 s2, ttmp9, s2
	s_getreg_b32 s22, hwreg(HW_REG_IB_STS2, 6, 4)
	s_add_co_i32 s20, s20, s2
	s_cmp_eq_u32 s22, 0
	s_load_b512 s[36:51], s[0:1], 0x0
	s_cselect_b32 s26, ttmp9, s20
	s_bfe_u32 s2, ttmp6, 0x40014
	s_lshr_b32 s20, ttmp7, 16
	s_add_co_i32 s2, s2, 1
	s_bfe_u32 s21, ttmp6, 0x40008
	s_mul_i32 s2, s20, s2
	v_bfe_u32 v1, v0, 10, 10
	s_add_co_i32 s21, s21, s2
	s_cmp_eq_u32 s22, 0
	v_and_b32_e32 v8, 0x3ff, v0
	s_cselect_b32 s2, s20, s21
	s_and_b32 s20, ttmp7, 0xffff
	s_wait_kmcnt 0x0
	v_mad_u32 v2, s2, s3, v1
	s_bfe_u32 s2, ttmp6, 0x40010
	s_bfe_u32 s3, ttmp6, 0x40004
	s_add_co_i32 s2, s2, 1
	s_mov_b32 s21, 0
	s_mul_i32 s2, s20, s2
	s_mov_b32 s27, s21
	s_add_co_i32 s2, s3, s2
	s_cmp_eq_u32 s22, 0
	s_mov_b32 s3, s21
	s_cselect_b32 s20, s20, s2
	v_dual_lshlrev_b32 v4, 5, v2 :: v_dual_lshlrev_b32 v0, 2, v8
	s_mul_u64 s[34:35], s[50:51], s[20:21]
	s_lshl_b32 s2, s26, 10
	s_lshl_b64 s[22:23], s[34:35], 12
	s_delay_alu instid0(VALU_DEP_1)
	v_dual_ashrrev_i32 v5, 31, v4 :: v_dual_mov_b32 v1, 0
	s_lshl_b64 s[2:3], s[2:3], 2
	s_add_nc_u64 s[22:23], s[46:47], s[22:23]
	s_mul_u64 s[18:19], s[18:19], s[20:21]
	s_add_nc_u64 s[2:3], s[22:23], s[2:3]
	s_mul_u64 s[6:7], s[50:51], s[6:7]
	v_lshl_add_u64 v[6:7], v[4:5], 2, s[2:3]
	v_mbcnt_lo_u32_b32 v5, -1, 0
	s_lshl_b64 s[18:19], s[18:19], 2
	s_mul_u64 s[14:15], s[14:15], s[26:27]
	v_add_nc_u32_e32 v4, v4, v8
	v_add_nc_u64_e32 v[6:7], v[6:7], v[0:1]
	v_xor_b32_e32 v9, 4, v5
	s_mul_u64 s[52:53], s[6:7], s[4:5]
	s_add_nc_u64 s[18:19], s[40:41], s[18:19]
	s_lshl_b64 s[14:15], s[14:15], 2
	s_mul_u64 s[24:25], s[34:35], s[4:5]
	s_add_nc_u64 s[34:35], s[34:35], s[26:27]
	global_load_b32 v12, v[6:7], off
	s_wait_xcnt 0x0
	v_xor_b32_e32 v6, 8, v5
	v_xor_b32_e32 v3, 16, v5
	s_clause 0x3
	s_load_b128 s[28:31], s[0:1], 0x98
	s_load_b32 s33, s[0:1], 0xa8
	s_load_b64 s[22:23], s[0:1], 0xb0
	s_load_b64 s[46:47], s[0:1], 0x90
	s_wait_xcnt 0x0
	s_load_b128 s[0:3], s[0:1], 0x80
	s_lshl_b64 s[52:53], s[52:53], 7
	s_add_nc_u64 s[14:15], s[18:19], s[14:15]
	v_cmp_gt_i32_e32 vcc_lo, 32, v3
	s_add_nc_u64 s[24:25], s[24:25], s[26:27]
	s_add_nc_u64 s[52:53], s[48:49], s[52:53]
	s_lshl_b64 s[24:25], s[24:25], 7
	s_lshl_b64 s[6:7], s[6:7], 10
	v_cndmask_b32_e32 v7, v5, v3, vcc_lo
	v_cmp_gt_i32_e32 vcc_lo, 32, v6
	v_dual_ashrrev_i32 v3, 31, v2 :: v_dual_bitop2_b32 v10, 2, v5 bitop3:0x14
	v_cndmask_b32_e32 v6, v5, v6, vcc_lo
	v_cmp_gt_i32_e32 vcc_lo, 32, v9
	s_wait_kmcnt 0x0
	s_mul_hi_u32 s28, s28, s26
	s_mul_hi_u32 s31, s31, s20
	s_add_co_i32 s28, s26, s28
	v_dual_cndmask_b32 v9, v5, v9 :: v_dual_lshlrev_b32 v14, 2, v6
	v_cmp_gt_i32_e32 vcc_lo, 32, v10
	v_xor_b32_e32 v13, 1, v5
	s_lshr_b32 s28, s28, s29
	s_add_co_i32 s29, s20, s31
	s_mul_i32 s30, s28, s30
	v_cndmask_b32_e32 v16, v5, v10, vcc_lo
	v_cmp_gt_i32_e32 vcc_lo, 32, v13
	v_lshlrev_b64_e32 v[10:11], 2, v[2:3]
	s_lshr_b32 s28, s29, s33
	s_sub_co_i32 s30, s26, s30
	s_mov_b32 s29, s21
	v_dual_cndmask_b32 v2, v5, v13, vcc_lo :: v_dual_lshlrev_b32 v16, 2, v16
	s_mov_b32 s31, s21
	s_mul_u64 s[12:13], s[12:13], s[28:29]
	s_mul_u64 s[8:9], s[8:9], s[30:31]
	v_ashrrev_i32_e32 v5, 31, v4
	s_mul_u64 s[18:19], s[46:47], s[20:21]
	s_mul_u64 s[26:27], s[0:1], s[26:27]
	v_dual_lshlrev_b32 v15, 2, v9 :: v_dual_lshlrev_b32 v17, 2, v2
	v_add_nc_u64_e32 v[2:3], s[14:15], v[10:11]
	s_lshl_b64 s[14:15], s[34:35], 12
	s_lshl_b64 s[12:13], s[12:13], 2
	;; [unrolled: 1-line block ×3, first 2 shown]
	s_add_nc_u64 s[14:15], s[52:53], s[14:15]
	s_add_nc_u64 s[8:9], s[12:13], s[8:9]
	;; [unrolled: 1-line block ×3, first 2 shown]
	v_lshl_add_u64 v[4:5], v[4:5], 2, s[14:15]
	s_lshl_b64 s[14:15], s[12:13], 7
	v_lshlrev_b32_e32 v13, 2, v7
	v_add_nc_u64_e32 v[6:7], s[8:9], v[0:1]
	s_lshl_b64 s[8:9], s[10:11], 2
	s_lshl_b64 s[10:11], s[16:17], 2
	s_add_nc_u64 s[14:15], s[42:43], s[14:15]
	s_add_nc_u64 s[16:17], s[48:49], s[24:25]
	v_cmp_eq_u32_e64 s0, 0, v8
	v_add_nc_u64_e32 v[8:9], s[14:15], v[0:1]
	v_add_nc_u64_e32 v[10:11], s[16:17], v[10:11]
	s_lshl_b64 s[12:13], s[12:13], 2
	s_add_co_i32 s20, s4, -1
	s_add_nc_u64 s[12:13], s[44:45], s[12:13]
	s_lshl_b64 s[14:15], s[2:3], 2
	s_lshl_b64 s[2:3], s[2:3], 7
	;; [unrolled: 1-line block ×3, first 2 shown]
	s_mov_b64 s[18:19], 0
	s_branch .LBB1_3
.LBB1_2:                                ;   in Loop: Header=BB1_3 Depth=1
	s_add_nc_u64 s[18:19], s[18:19], 1
	v_add_nc_u64_e32 v[6:7], s[8:9], v[6:7]
	v_cmp_le_i64_e64 s1, s[4:5], s[18:19]
	v_add_nc_u64_e32 v[2:3], s[10:11], v[2:3]
	v_add_nc_u64_e32 v[8:9], s[2:3], v[8:9]
	;; [unrolled: 1-line block ×3, first 2 shown]
	s_add_co_i32 s20, s20, -1
	s_add_nc_u64 s[12:13], s[12:13], s[14:15]
	s_and_b32 vcc_lo, exec_lo, s1
	s_cbranch_vccnz .LBB1_7
.LBB1_3:                                ; =>This Inner Loop Header: Depth=1
	global_load_b32 v0, v[8:9], off
	s_wait_dscnt 0x0
	s_wait_xcnt 0x1
	v_add_nc_u64_e32 v[18:19], s[38:39], v[6:7]
	global_load_b32 v20, v[18:19], off
	global_load_b32 v21, v[2:3], off
	global_load_b32 v22, v1, s[12:13]
	s_wait_xcnt 0x2
	v_add_nc_u64_e32 v[18:19], s[36:37], v[6:7]
	global_load_b32 v18, v[18:19], off
	s_wait_loadcnt 0x4
	s_wait_xcnt 0x0
	v_mul_f32_e32 v19, 0x3fb8aa3b, v0
	v_cmp_ngt_f32_e32 vcc_lo, 0xc2ce8ed0, v0
	s_delay_alu instid0(VALU_DEP_2) | instskip(SKIP_1) | instid1(VALU_DEP_1)
	v_rndne_f32_e32 v23, v19
	v_fma_f32 v24, 0x3fb8aa3b, v0, -v19
	v_dual_sub_f32 v19, v19, v23 :: v_dual_fmac_f32 v24, 0x32a5705f, v0
	v_cvt_i32_f32_e32 v23, v23
	s_delay_alu instid0(VALU_DEP_2) | instskip(NEXT) | instid1(VALU_DEP_1)
	v_add_f32_e32 v19, v19, v24
	v_exp_f32_e32 v19, v19
	v_nop
	s_delay_alu instid0(TRANS32_DEP_1) | instskip(NEXT) | instid1(VALU_DEP_1)
	v_ldexp_f32 v19, v19, v23
	v_cndmask_b32_e32 v19, 0, v19, vcc_lo
	v_cmp_nlt_f32_e32 vcc_lo, 0x42b17218, v0
	s_delay_alu instid0(VALU_DEP_2) | instskip(NEXT) | instid1(VALU_DEP_1)
	v_cndmask_b32_e32 v0, 0x7f800000, v19, vcc_lo
	v_mul_f32_e32 v12, v12, v0
	s_wait_loadcnt 0x3
	s_delay_alu instid0(VALU_DEP_1)
	v_fma_f32 v0, v20, v12, 0
	ds_bpermute_b32 v19, v13, v0
	s_wait_dscnt 0x0
	v_add_f32_e32 v0, v0, v19
	ds_bpermute_b32 v19, v14, v0
	s_wait_dscnt 0x0
	v_add_f32_e32 v0, v0, v19
	;; [unrolled: 3-line block ×5, first 2 shown]
	s_wait_loadcnt 0x2
	s_delay_alu instid0(VALU_DEP_1) | instskip(SKIP_1) | instid1(VALU_DEP_1)
	v_sub_f32_e32 v0, v21, v0
	s_wait_loadcnt 0x1
	v_mul_f32_e32 v0, v22, v0
	s_delay_alu instid0(VALU_DEP_1) | instskip(SKIP_1) | instid1(VALU_DEP_1)
	v_fmac_f32_e32 v12, v20, v0
	s_wait_loadcnt 0x0
	v_fma_f32 v0, v18, v12, 0
	ds_bpermute_b32 v18, v13, v0
	s_wait_dscnt 0x0
	v_add_f32_e32 v0, v0, v18
	ds_bpermute_b32 v18, v14, v0
	s_wait_dscnt 0x0
	v_add_f32_e32 v0, v0, v18
	;; [unrolled: 3-line block ×4, first 2 shown]
	ds_bpermute_b32 v18, v17, v0
	s_and_saveexec_b32 s1, s0
	s_cbranch_execz .LBB1_5
; %bb.4:                                ;   in Loop: Header=BB1_3 Depth=1
	s_wait_dscnt 0x0
	v_add_f32_e32 v0, v0, v18
	s_delay_alu instid0(VALU_DEP_1)
	v_mul_f32_e32 v0, s22, v0
	global_store_b32 v[10:11], v0, off
.LBB1_5:                                ;   in Loop: Header=BB1_3 Depth=1
	s_wait_xcnt 0x0
	s_or_b32 exec_lo, exec_lo, s1
	s_cmp_lt_i32 s20, 0
	s_cselect_b32 s1, -1, 0
	s_cmp_ge_i32 s20, s23
	s_cselect_b32 s24, -1, 0
	s_delay_alu instid0(SALU_CYCLE_1) | instskip(NEXT) | instid1(SALU_CYCLE_1)
	s_or_b32 s1, s1, s24
	s_and_b32 vcc_lo, exec_lo, s1
	s_cbranch_vccnz .LBB1_2
; %bb.6:                                ;   in Loop: Header=BB1_3 Depth=1
	s_mul_u64 s[24:25], s[6:7], s[20:21]
	s_wait_dscnt 0x0
	v_lshl_add_u64 v[18:19], s[24:25], 2, v[4:5]
	global_store_b32 v[18:19], v12, off
	s_branch .LBB1_2
.LBB1_7:
	s_endpgm
	.section	.rodata,"a",@progbits
	.p2align	6, 0x0
	.amdhsa_kernel _Z20gated_delta_net_cudaILi32ELb1ELb1EEvPKfS1_S1_S1_S1_S1_Pfllllllllllll15HIP_vector_typeIjLj3EES4_fi
		.amdhsa_group_segment_fixed_size 0
		.amdhsa_private_segment_fixed_size 0
		.amdhsa_kernarg_size 440
		.amdhsa_user_sgpr_count 2
		.amdhsa_user_sgpr_dispatch_ptr 0
		.amdhsa_user_sgpr_queue_ptr 0
		.amdhsa_user_sgpr_kernarg_segment_ptr 1
		.amdhsa_user_sgpr_dispatch_id 0
		.amdhsa_user_sgpr_kernarg_preload_length 0
		.amdhsa_user_sgpr_kernarg_preload_offset 0
		.amdhsa_user_sgpr_private_segment_size 0
		.amdhsa_wavefront_size32 1
		.amdhsa_uses_dynamic_stack 0
		.amdhsa_enable_private_segment 0
		.amdhsa_system_sgpr_workgroup_id_x 1
		.amdhsa_system_sgpr_workgroup_id_y 1
		.amdhsa_system_sgpr_workgroup_id_z 1
		.amdhsa_system_sgpr_workgroup_info 0
		.amdhsa_system_vgpr_workitem_id 1
		.amdhsa_next_free_vgpr 25
		.amdhsa_next_free_sgpr 54
		.amdhsa_named_barrier_count 0
		.amdhsa_reserve_vcc 1
		.amdhsa_float_round_mode_32 0
		.amdhsa_float_round_mode_16_64 0
		.amdhsa_float_denorm_mode_32 3
		.amdhsa_float_denorm_mode_16_64 3
		.amdhsa_fp16_overflow 0
		.amdhsa_memory_ordered 1
		.amdhsa_forward_progress 1
		.amdhsa_inst_pref_size 10
		.amdhsa_round_robin_scheduling 0
		.amdhsa_exception_fp_ieee_invalid_op 0
		.amdhsa_exception_fp_denorm_src 0
		.amdhsa_exception_fp_ieee_div_zero 0
		.amdhsa_exception_fp_ieee_overflow 0
		.amdhsa_exception_fp_ieee_underflow 0
		.amdhsa_exception_fp_ieee_inexact 0
		.amdhsa_exception_int_div_zero 0
	.end_amdhsa_kernel
	.section	.text._Z20gated_delta_net_cudaILi32ELb1ELb1EEvPKfS1_S1_S1_S1_S1_Pfllllllllllll15HIP_vector_typeIjLj3EES4_fi,"axG",@progbits,_Z20gated_delta_net_cudaILi32ELb1ELb1EEvPKfS1_S1_S1_S1_S1_Pfllllllllllll15HIP_vector_typeIjLj3EES4_fi,comdat
.Lfunc_end1:
	.size	_Z20gated_delta_net_cudaILi32ELb1ELb1EEvPKfS1_S1_S1_S1_S1_Pfllllllllllll15HIP_vector_typeIjLj3EES4_fi, .Lfunc_end1-_Z20gated_delta_net_cudaILi32ELb1ELb1EEvPKfS1_S1_S1_S1_S1_Pfllllllllllll15HIP_vector_typeIjLj3EES4_fi
                                        ; -- End function
	.set _Z20gated_delta_net_cudaILi32ELb1ELb1EEvPKfS1_S1_S1_S1_S1_Pfllllllllllll15HIP_vector_typeIjLj3EES4_fi.num_vgpr, 25
	.set _Z20gated_delta_net_cudaILi32ELb1ELb1EEvPKfS1_S1_S1_S1_S1_Pfllllllllllll15HIP_vector_typeIjLj3EES4_fi.num_agpr, 0
	.set _Z20gated_delta_net_cudaILi32ELb1ELb1EEvPKfS1_S1_S1_S1_S1_Pfllllllllllll15HIP_vector_typeIjLj3EES4_fi.numbered_sgpr, 54
	.set _Z20gated_delta_net_cudaILi32ELb1ELb1EEvPKfS1_S1_S1_S1_S1_Pfllllllllllll15HIP_vector_typeIjLj3EES4_fi.num_named_barrier, 0
	.set _Z20gated_delta_net_cudaILi32ELb1ELb1EEvPKfS1_S1_S1_S1_S1_Pfllllllllllll15HIP_vector_typeIjLj3EES4_fi.private_seg_size, 0
	.set _Z20gated_delta_net_cudaILi32ELb1ELb1EEvPKfS1_S1_S1_S1_S1_Pfllllllllllll15HIP_vector_typeIjLj3EES4_fi.uses_vcc, 1
	.set _Z20gated_delta_net_cudaILi32ELb1ELb1EEvPKfS1_S1_S1_S1_S1_Pfllllllllllll15HIP_vector_typeIjLj3EES4_fi.uses_flat_scratch, 0
	.set _Z20gated_delta_net_cudaILi32ELb1ELb1EEvPKfS1_S1_S1_S1_S1_Pfllllllllllll15HIP_vector_typeIjLj3EES4_fi.has_dyn_sized_stack, 0
	.set _Z20gated_delta_net_cudaILi32ELb1ELb1EEvPKfS1_S1_S1_S1_S1_Pfllllllllllll15HIP_vector_typeIjLj3EES4_fi.has_recursion, 0
	.set _Z20gated_delta_net_cudaILi32ELb1ELb1EEvPKfS1_S1_S1_S1_S1_Pfllllllllllll15HIP_vector_typeIjLj3EES4_fi.has_indirect_call, 0
	.section	.AMDGPU.csdata,"",@progbits
; Kernel info:
; codeLenInByte = 1236
; TotalNumSgprs: 56
; NumVgprs: 25
; ScratchSize: 0
; MemoryBound: 0
; FloatMode: 240
; IeeeMode: 1
; LDSByteSize: 0 bytes/workgroup (compile time only)
; SGPRBlocks: 0
; VGPRBlocks: 1
; NumSGPRsForWavesPerEU: 56
; NumVGPRsForWavesPerEU: 25
; NamedBarCnt: 0
; Occupancy: 16
; WaveLimiterHint : 1
; COMPUTE_PGM_RSRC2:SCRATCH_EN: 0
; COMPUTE_PGM_RSRC2:USER_SGPR: 2
; COMPUTE_PGM_RSRC2:TRAP_HANDLER: 0
; COMPUTE_PGM_RSRC2:TGID_X_EN: 1
; COMPUTE_PGM_RSRC2:TGID_Y_EN: 1
; COMPUTE_PGM_RSRC2:TGID_Z_EN: 1
; COMPUTE_PGM_RSRC2:TIDIG_COMP_CNT: 1
	.section	.text._Z20gated_delta_net_cudaILi64ELb1ELb1EEvPKfS1_S1_S1_S1_S1_Pfllllllllllll15HIP_vector_typeIjLj3EES4_fi,"axG",@progbits,_Z20gated_delta_net_cudaILi64ELb1ELb1EEvPKfS1_S1_S1_S1_S1_Pfllllllllllll15HIP_vector_typeIjLj3EES4_fi,comdat
	.protected	_Z20gated_delta_net_cudaILi64ELb1ELb1EEvPKfS1_S1_S1_S1_S1_Pfllllllllllll15HIP_vector_typeIjLj3EES4_fi ; -- Begin function _Z20gated_delta_net_cudaILi64ELb1ELb1EEvPKfS1_S1_S1_S1_S1_Pfllllllllllll15HIP_vector_typeIjLj3EES4_fi
	.globl	_Z20gated_delta_net_cudaILi64ELb1ELb1EEvPKfS1_S1_S1_S1_S1_Pfllllllllllll15HIP_vector_typeIjLj3EES4_fi
	.p2align	8
	.type	_Z20gated_delta_net_cudaILi64ELb1ELb1EEvPKfS1_S1_S1_S1_S1_Pfllllllllllll15HIP_vector_typeIjLj3EES4_fi,@function
_Z20gated_delta_net_cudaILi64ELb1ELb1EEvPKfS1_S1_S1_S1_S1_Pfllllllllllll15HIP_vector_typeIjLj3EES4_fi: ; @_Z20gated_delta_net_cudaILi64ELb1ELb1EEvPKfS1_S1_S1_S1_S1_Pfllllllllllll15HIP_vector_typeIjLj3EES4_fi
; %bb.0:
	s_load_b512 s[4:19], s[0:1], 0x40
	s_wait_kmcnt 0x0
	v_cmp_lt_i64_e64 s2, s[4:5], 1
	s_and_b32 vcc_lo, exec_lo, s2
	s_cbranch_vccnz .LBB2_7
; %bb.1:
	s_clause 0x1
	s_load_u16 s21, s[0:1], 0xc6
	s_load_b512 s[36:51], s[0:1], 0x0
	s_bfe_u32 s2, ttmp6, 0x40014
	s_lshr_b32 s3, ttmp7, 16
	s_add_co_i32 s2, s2, 1
	s_bfe_u32 s20, ttmp6, 0x40008
	s_mul_i32 s2, s3, s2
	s_bfe_u32 s23, ttmp6, 0x40010
	s_add_co_i32 s20, s20, s2
	s_bfe_u32 s2, ttmp6, 0x4000c
	s_and_b32 s24, ttmp7, 0xffff
	s_add_co_i32 s2, s2, 1
	s_add_co_i32 s23, s23, 1
	s_and_b32 s22, ttmp6, 15
	s_mul_i32 s2, ttmp9, s2
	s_mul_i32 s23, s24, s23
	s_bfe_u32 s25, ttmp6, 0x40004
	s_add_co_i32 s22, s22, s2
	s_getreg_b32 s2, hwreg(HW_REG_IB_STS2, 6, 4)
	s_add_co_i32 s25, s25, s23
	v_bfe_u32 v1, v0, 10, 10
	s_cmp_eq_u32 s2, 0
	v_and_b32_e32 v10, 0x3ff, v0
	s_cselect_b32 s2, s3, s20
	s_mov_b32 s3, 0
	s_wait_kmcnt 0x0
	v_mad_u32 v4, s2, s21, v1
	s_cselect_b32 s2, s24, s25
	s_cselect_b32 s26, ttmp9, s22
	s_mul_u64 s[34:35], s[50:51], s[2:3]
	s_mov_b32 s21, s3
	s_lshl_b32 s20, s26, 12
	s_lshl_b64 s[22:23], s[34:35], 14
	v_mov_b32_e32 v1, 0
	s_lshl_b64 s[20:21], s[20:21], 2
	s_add_nc_u64 s[22:23], s[46:47], s[22:23]
	s_mul_u64 s[6:7], s[50:51], s[6:7]
	v_lshlrev_b32_e32 v6, 6, v4
	s_add_nc_u64 s[20:21], s[22:23], s[20:21]
	s_mov_b32 s27, s3
	s_mul_u64 s[52:53], s[6:7], s[4:5]
	s_mul_u64 s[14:15], s[14:15], s[26:27]
	v_ashrrev_i32_e32 v7, 31, v6
	s_lshl_b64 s[14:15], s[14:15], 2
	s_lshl_b64 s[6:7], s[6:7], 12
	;; [unrolled: 1-line block ×3, first 2 shown]
	s_delay_alu instid0(VALU_DEP_1) | instskip(SKIP_2) | instid1(VALU_DEP_2)
	v_lshl_add_u64 v[2:3], v[6:7], 2, s[20:21]
	v_mbcnt_lo_u32_b32 v7, -1, 0
	v_dual_lshlrev_b32 v0, 2, v10 :: v_dual_add_nc_u32 v6, v6, v10
	v_xor_b32_e32 v5, 16, v7
	s_delay_alu instid0(VALU_DEP_2)
	v_add_nc_u64_e32 v[8:9], v[2:3], v[0:1]
	s_clause 0x1
	global_load_b32 v2, v[8:9], off
	global_load_b32 v3, v[8:9], off offset:128
	s_clause 0x4
	s_load_b128 s[28:31], s[0:1], 0x98
	s_load_b32 s33, s[0:1], 0xa8
	s_load_b64 s[24:25], s[0:1], 0xb0
	s_load_b64 s[46:47], s[0:1], 0x90
	s_load_b128 s[20:23], s[0:1], 0x80
	v_cmp_gt_i32_e32 vcc_lo, 32, v5
	v_xor_b32_e32 v8, 8, v7
	s_wait_xcnt 0x0
	s_mul_u64 s[0:1], s[34:35], s[4:5]
	s_add_nc_u64 s[34:35], s[34:35], s[26:27]
	s_add_nc_u64 s[0:1], s[0:1], s[26:27]
	v_cndmask_b32_e32 v11, v7, v5, vcc_lo
	v_cmp_gt_i32_e32 vcc_lo, 32, v8
	v_xor_b32_e32 v9, 4, v7
	s_lshl_b64 s[54:55], s[0:1], 8
	s_lshl_b64 s[0:1], s[52:53], 8
	v_ashrrev_i32_e32 v5, 31, v4
	v_cndmask_b32_e32 v12, v7, v8, vcc_lo
	v_cmp_gt_i32_e32 vcc_lo, 32, v9
	v_xor_b32_e32 v8, 2, v7
	s_add_nc_u64 s[52:53], s[48:49], s[0:1]
	s_wait_kmcnt 0x0
	s_mul_hi_u32 s28, s28, s26
	s_mul_hi_u32 s31, s31, s2
	s_add_co_i32 s28, s26, s28
	v_cndmask_b32_e32 v16, v7, v9, vcc_lo
	s_lshr_b32 s0, s28, s29
	v_cmp_gt_i32_e32 vcc_lo, 32, v8
	v_xor_b32_e32 v13, 1, v7
	s_add_co_i32 s1, s2, s31
	s_mul_i32 s0, s0, s30
	s_lshr_b32 s28, s1, s33
	s_sub_co_i32 s30, s26, s0
	s_mul_u64 s[0:1], s[18:19], s[2:3]
	v_cndmask_b32_e32 v17, v7, v8, vcc_lo
	s_lshl_b64 s[0:1], s[0:1], 2
	v_cmp_gt_i32_e32 vcc_lo, 32, v13
	s_mov_b32 s29, s3
	s_mov_b32 s31, s3
	s_add_nc_u64 s[0:1], s[40:41], s[0:1]
	v_lshlrev_b64_e32 v[8:9], 2, v[4:5]
	s_add_nc_u64 s[0:1], s[0:1], s[14:15]
	s_mul_u64 s[14:15], s[46:47], s[2:3]
	s_mul_u64 s[18:19], s[20:21], s[26:27]
	;; [unrolled: 1-line block ×4, first 2 shown]
	v_dual_cndmask_b32 v4, v7, v13, vcc_lo :: v_dual_lshlrev_b32 v14, 2, v11
	s_lshl_b64 s[12:13], s[12:13], 2
	s_lshl_b64 s[8:9], s[8:9], 2
	s_add_nc_u64 s[14:15], s[14:15], s[18:19]
	s_add_nc_u64 s[8:9], s[12:13], s[8:9]
	s_lshl_b64 s[12:13], s[14:15], 8
	v_lshlrev_b32_e32 v16, 2, v16
	v_dual_lshlrev_b32 v18, 2, v4 :: v_dual_ashrrev_i32 v7, 31, v6
	v_add_nc_u64_e32 v[4:5], s[0:1], v[8:9]
	v_cmp_eq_u32_e64 s0, 0, v10
	v_add_nc_u64_e32 v[10:11], s[8:9], v[0:1]
	s_add_nc_u64 s[8:9], s[42:43], s[12:13]
	v_dual_lshlrev_b32 v15, 2, v12 :: v_dual_lshlrev_b32 v17, 2, v17
	v_add_nc_u64_e32 v[12:13], s[8:9], v[0:1]
	s_lshl_b64 s[20:21], s[34:35], 14
	s_add_nc_u64 s[8:9], s[48:49], s[54:55]
	s_add_nc_u64 s[20:21], s[52:53], s[20:21]
	v_add_nc_u64_e32 v[8:9], s[8:9], v[8:9]
	v_add_nc_u64_e32 v[10:11], 0x80, v[10:11]
	v_lshl_add_u64 v[6:7], v[6:7], 2, s[20:21]
	v_add_nc_u64_e32 v[12:13], 0x80, v[12:13]
	s_lshl_b64 s[18:19], s[14:15], 2
	s_add_co_i32 s2, s4, -1
	s_lshl_b64 s[8:9], s[50:51], 8
	s_lshl_b64 s[12:13], s[22:23], 8
	;; [unrolled: 1-line block ×3, first 2 shown]
	s_add_nc_u64 s[16:17], s[44:45], s[18:19]
	s_lshl_b64 s[18:19], s[22:23], 2
	s_mov_b64 s[20:21], 0
	s_branch .LBB2_3
.LBB2_2:                                ;   in Loop: Header=BB2_3 Depth=1
	s_add_nc_u64 s[20:21], s[20:21], 1
	v_add_nc_u64_e32 v[8:9], s[8:9], v[8:9]
	v_cmp_le_i64_e64 s1, s[4:5], s[20:21]
	v_add_nc_u64_e32 v[10:11], s[10:11], v[10:11]
	v_add_nc_u64_e32 v[12:13], s[12:13], v[12:13]
	;; [unrolled: 1-line block ×3, first 2 shown]
	s_add_co_i32 s2, s2, -1
	s_add_nc_u64 s[16:17], s[16:17], s[18:19]
	s_and_b32 vcc_lo, exec_lo, s1
	s_cbranch_vccnz .LBB2_7
.LBB2_3:                                ; =>This Inner Loop Header: Depth=1
	global_load_b32 v0, v[12:13], off offset:-128
	s_wait_dscnt 0x0
	global_load_b32 v19, v[12:13], off
	s_wait_xcnt 0x2
	v_add_nc_u64_e32 v[20:21], s[38:39], v[10:11]
	s_clause 0x1
	global_load_b32 v22, v[20:21], off offset:-128
	global_load_b32 v23, v[20:21], off
	global_load_b32 v28, v[4:5], off
	global_load_b32 v29, v1, s[16:17]
	s_wait_xcnt 0x2
	v_add_nc_u64_e32 v[20:21], s[36:37], v[10:11]
	s_clause 0x1
	global_load_b32 v30, v[20:21], off offset:-128
	global_load_b32 v31, v[20:21], off
	s_wait_loadcnt 0x6
	s_wait_xcnt 0x0
	v_dual_mul_f32 v20, 0x3fb8aa3b, v0 :: v_dual_mul_f32 v21, 0x3fb8aa3b, v19
	v_cmp_ngt_f32_e32 vcc_lo, 0xc2ce8ed0, v0
	s_delay_alu instid0(VALU_DEP_2) | instskip(SKIP_1) | instid1(VALU_DEP_4)
	v_rndne_f32_e32 v24, v20
	v_fma_f32 v25, 0x3fb8aa3b, v0, -v20
	v_rndne_f32_e32 v26, v21
	v_fma_f32 v27, 0x3fb8aa3b, v19, -v21
	s_delay_alu instid0(VALU_DEP_4) | instskip(NEXT) | instid1(VALU_DEP_4)
	v_sub_f32_e32 v20, v20, v24
	v_fmac_f32_e32 v25, 0x32a5705f, v0
	s_delay_alu instid0(VALU_DEP_4) | instskip(NEXT) | instid1(VALU_DEP_4)
	v_sub_f32_e32 v21, v21, v26
	v_fmac_f32_e32 v27, 0x32a5705f, v19
	v_cvt_i32_f32_e32 v24, v24
	s_delay_alu instid0(VALU_DEP_4) | instskip(SKIP_1) | instid1(VALU_DEP_2)
	v_add_f32_e32 v20, v20, v25
	v_cvt_i32_f32_e32 v25, v26
	v_exp_f32_e32 v20, v20
	v_nop
	s_delay_alu instid0(TRANS32_DEP_1) | instskip(NEXT) | instid1(VALU_DEP_1)
	v_ldexp_f32 v20, v20, v24
	v_dual_add_f32 v21, v21, v27 :: v_dual_cndmask_b32 v20, 0, v20
	s_delay_alu instid0(VALU_DEP_1) | instskip(SKIP_1) | instid1(TRANS32_DEP_1)
	v_exp_f32_e32 v21, v21
	v_cmp_ngt_f32_e32 vcc_lo, 0xc2ce8ed0, v19
	v_ldexp_f32 v21, v21, v25
	s_delay_alu instid0(VALU_DEP_1) | instskip(SKIP_3) | instid1(VALU_DEP_4)
	v_cndmask_b32_e32 v21, 0, v21, vcc_lo
	v_cmp_nlt_f32_e32 vcc_lo, 0x42b17218, v0
	v_cndmask_b32_e32 v20, 0x7f800000, v20, vcc_lo
	v_cmp_nlt_f32_e32 vcc_lo, 0x42b17218, v19
	v_cndmask_b32_e32 v21, 0x7f800000, v21, vcc_lo
	s_delay_alu instid0(VALU_DEP_1) | instskip(SKIP_2) | instid1(VALU_DEP_2)
	v_pk_mul_f32 v[24:25], v[2:3], v[20:21]
	s_wait_loadcnt 0x4
	v_mov_b32_e32 v20, v23
	v_pk_mul_f32 v[26:27], v[22:23], v[24:25]
	s_delay_alu instid0(VALU_DEP_1) | instskip(NEXT) | instid1(VALU_DEP_1)
	v_add_f32_e32 v0, 0, v26
	v_add_f32_e32 v0, v0, v27
	ds_bpermute_b32 v2, v14, v0
	s_wait_dscnt 0x0
	v_add_f32_e32 v0, v0, v2
	ds_bpermute_b32 v2, v15, v0
	s_wait_dscnt 0x0
	;; [unrolled: 3-line block ×5, first 2 shown]
	v_add_f32_e32 v0, v0, v2
	s_wait_loadcnt 0x3
	s_delay_alu instid0(VALU_DEP_1) | instskip(SKIP_1) | instid1(VALU_DEP_1)
	v_sub_f32_e32 v0, v28, v0
	s_wait_loadcnt 0x2
	v_mul_f32_e32 v2, v29, v0
	s_delay_alu instid0(VALU_DEP_1) | instskip(NEXT) | instid1(VALU_DEP_1)
	v_pk_mul_f32 v[20:21], v[2:3], v[20:21]
	v_dual_mov_b32 v3, v20 :: v_dual_mul_f32 v2, v2, v22
	s_delay_alu instid0(VALU_DEP_2) | instskip(NEXT) | instid1(VALU_DEP_1)
	v_mov_b32_e32 v25, v21
	v_pk_add_f32 v[2:3], v[2:3], v[24:25]
	s_wait_loadcnt 0x1
	s_delay_alu instid0(VALU_DEP_1) | instskip(SKIP_1) | instid1(VALU_DEP_1)
	v_fma_f32 v0, v30, v2, 0
	s_wait_loadcnt 0x0
	v_fmac_f32_e32 v0, v31, v3
	ds_bpermute_b32 v19, v14, v0
	s_wait_dscnt 0x0
	v_add_f32_e32 v0, v0, v19
	ds_bpermute_b32 v19, v15, v0
	s_wait_dscnt 0x0
	v_add_f32_e32 v0, v0, v19
	;; [unrolled: 3-line block ×4, first 2 shown]
	ds_bpermute_b32 v19, v18, v0
	s_and_saveexec_b32 s1, s0
	s_cbranch_execz .LBB2_5
; %bb.4:                                ;   in Loop: Header=BB2_3 Depth=1
	s_wait_dscnt 0x0
	v_add_f32_e32 v0, v0, v19
	s_delay_alu instid0(VALU_DEP_1)
	v_mul_f32_e32 v0, s24, v0
	global_store_b32 v[8:9], v0, off
.LBB2_5:                                ;   in Loop: Header=BB2_3 Depth=1
	s_wait_xcnt 0x0
	s_or_b32 exec_lo, exec_lo, s1
	s_cmp_lt_i32 s2, 0
	s_cselect_b32 s1, -1, 0
	s_cmp_ge_i32 s2, s25
	s_cselect_b32 s22, -1, 0
	s_delay_alu instid0(SALU_CYCLE_1) | instskip(NEXT) | instid1(SALU_CYCLE_1)
	s_or_b32 s1, s1, s22
	s_and_b32 vcc_lo, exec_lo, s1
	s_cbranch_vccnz .LBB2_2
; %bb.6:                                ;   in Loop: Header=BB2_3 Depth=1
	s_mul_u64 s[22:23], s[6:7], s[2:3]
	s_delay_alu instid0(SALU_CYCLE_1)
	v_lshl_add_u64 v[20:21], s[22:23], 2, v[6:7]
	s_clause 0x1
	global_store_b32 v[20:21], v2, off
	global_store_b32 v[20:21], v3, off offset:128
	s_branch .LBB2_2
.LBB2_7:
	s_endpgm
	.section	.rodata,"a",@progbits
	.p2align	6, 0x0
	.amdhsa_kernel _Z20gated_delta_net_cudaILi64ELb1ELb1EEvPKfS1_S1_S1_S1_S1_Pfllllllllllll15HIP_vector_typeIjLj3EES4_fi
		.amdhsa_group_segment_fixed_size 0
		.amdhsa_private_segment_fixed_size 0
		.amdhsa_kernarg_size 440
		.amdhsa_user_sgpr_count 2
		.amdhsa_user_sgpr_dispatch_ptr 0
		.amdhsa_user_sgpr_queue_ptr 0
		.amdhsa_user_sgpr_kernarg_segment_ptr 1
		.amdhsa_user_sgpr_dispatch_id 0
		.amdhsa_user_sgpr_kernarg_preload_length 0
		.amdhsa_user_sgpr_kernarg_preload_offset 0
		.amdhsa_user_sgpr_private_segment_size 0
		.amdhsa_wavefront_size32 1
		.amdhsa_uses_dynamic_stack 0
		.amdhsa_enable_private_segment 0
		.amdhsa_system_sgpr_workgroup_id_x 1
		.amdhsa_system_sgpr_workgroup_id_y 1
		.amdhsa_system_sgpr_workgroup_id_z 1
		.amdhsa_system_sgpr_workgroup_info 0
		.amdhsa_system_vgpr_workitem_id 1
		.amdhsa_next_free_vgpr 32
		.amdhsa_next_free_sgpr 56
		.amdhsa_named_barrier_count 0
		.amdhsa_reserve_vcc 1
		.amdhsa_float_round_mode_32 0
		.amdhsa_float_round_mode_16_64 0
		.amdhsa_float_denorm_mode_32 3
		.amdhsa_float_denorm_mode_16_64 3
		.amdhsa_fp16_overflow 0
		.amdhsa_memory_ordered 1
		.amdhsa_forward_progress 1
		.amdhsa_inst_pref_size 12
		.amdhsa_round_robin_scheduling 0
		.amdhsa_exception_fp_ieee_invalid_op 0
		.amdhsa_exception_fp_denorm_src 0
		.amdhsa_exception_fp_ieee_div_zero 0
		.amdhsa_exception_fp_ieee_overflow 0
		.amdhsa_exception_fp_ieee_underflow 0
		.amdhsa_exception_fp_ieee_inexact 0
		.amdhsa_exception_int_div_zero 0
	.end_amdhsa_kernel
	.section	.text._Z20gated_delta_net_cudaILi64ELb1ELb1EEvPKfS1_S1_S1_S1_S1_Pfllllllllllll15HIP_vector_typeIjLj3EES4_fi,"axG",@progbits,_Z20gated_delta_net_cudaILi64ELb1ELb1EEvPKfS1_S1_S1_S1_S1_Pfllllllllllll15HIP_vector_typeIjLj3EES4_fi,comdat
.Lfunc_end2:
	.size	_Z20gated_delta_net_cudaILi64ELb1ELb1EEvPKfS1_S1_S1_S1_S1_Pfllllllllllll15HIP_vector_typeIjLj3EES4_fi, .Lfunc_end2-_Z20gated_delta_net_cudaILi64ELb1ELb1EEvPKfS1_S1_S1_S1_S1_Pfllllllllllll15HIP_vector_typeIjLj3EES4_fi
                                        ; -- End function
	.set _Z20gated_delta_net_cudaILi64ELb1ELb1EEvPKfS1_S1_S1_S1_S1_Pfllllllllllll15HIP_vector_typeIjLj3EES4_fi.num_vgpr, 32
	.set _Z20gated_delta_net_cudaILi64ELb1ELb1EEvPKfS1_S1_S1_S1_S1_Pfllllllllllll15HIP_vector_typeIjLj3EES4_fi.num_agpr, 0
	.set _Z20gated_delta_net_cudaILi64ELb1ELb1EEvPKfS1_S1_S1_S1_S1_Pfllllllllllll15HIP_vector_typeIjLj3EES4_fi.numbered_sgpr, 56
	.set _Z20gated_delta_net_cudaILi64ELb1ELb1EEvPKfS1_S1_S1_S1_S1_Pfllllllllllll15HIP_vector_typeIjLj3EES4_fi.num_named_barrier, 0
	.set _Z20gated_delta_net_cudaILi64ELb1ELb1EEvPKfS1_S1_S1_S1_S1_Pfllllllllllll15HIP_vector_typeIjLj3EES4_fi.private_seg_size, 0
	.set _Z20gated_delta_net_cudaILi64ELb1ELb1EEvPKfS1_S1_S1_S1_S1_Pfllllllllllll15HIP_vector_typeIjLj3EES4_fi.uses_vcc, 1
	.set _Z20gated_delta_net_cudaILi64ELb1ELb1EEvPKfS1_S1_S1_S1_S1_Pfllllllllllll15HIP_vector_typeIjLj3EES4_fi.uses_flat_scratch, 0
	.set _Z20gated_delta_net_cudaILi64ELb1ELb1EEvPKfS1_S1_S1_S1_S1_Pfllllllllllll15HIP_vector_typeIjLj3EES4_fi.has_dyn_sized_stack, 0
	.set _Z20gated_delta_net_cudaILi64ELb1ELb1EEvPKfS1_S1_S1_S1_S1_Pfllllllllllll15HIP_vector_typeIjLj3EES4_fi.has_recursion, 0
	.set _Z20gated_delta_net_cudaILi64ELb1ELb1EEvPKfS1_S1_S1_S1_S1_Pfllllllllllll15HIP_vector_typeIjLj3EES4_fi.has_indirect_call, 0
	.section	.AMDGPU.csdata,"",@progbits
; Kernel info:
; codeLenInByte = 1472
; TotalNumSgprs: 58
; NumVgprs: 32
; ScratchSize: 0
; MemoryBound: 0
; FloatMode: 240
; IeeeMode: 1
; LDSByteSize: 0 bytes/workgroup (compile time only)
; SGPRBlocks: 0
; VGPRBlocks: 1
; NumSGPRsForWavesPerEU: 58
; NumVGPRsForWavesPerEU: 32
; NamedBarCnt: 0
; Occupancy: 16
; WaveLimiterHint : 1
; COMPUTE_PGM_RSRC2:SCRATCH_EN: 0
; COMPUTE_PGM_RSRC2:USER_SGPR: 2
; COMPUTE_PGM_RSRC2:TRAP_HANDLER: 0
; COMPUTE_PGM_RSRC2:TGID_X_EN: 1
; COMPUTE_PGM_RSRC2:TGID_Y_EN: 1
; COMPUTE_PGM_RSRC2:TGID_Z_EN: 1
; COMPUTE_PGM_RSRC2:TIDIG_COMP_CNT: 1
	.section	.text._Z20gated_delta_net_cudaILi128ELb1ELb1EEvPKfS1_S1_S1_S1_S1_Pfllllllllllll15HIP_vector_typeIjLj3EES4_fi,"axG",@progbits,_Z20gated_delta_net_cudaILi128ELb1ELb1EEvPKfS1_S1_S1_S1_S1_Pfllllllllllll15HIP_vector_typeIjLj3EES4_fi,comdat
	.protected	_Z20gated_delta_net_cudaILi128ELb1ELb1EEvPKfS1_S1_S1_S1_S1_Pfllllllllllll15HIP_vector_typeIjLj3EES4_fi ; -- Begin function _Z20gated_delta_net_cudaILi128ELb1ELb1EEvPKfS1_S1_S1_S1_S1_Pfllllllllllll15HIP_vector_typeIjLj3EES4_fi
	.globl	_Z20gated_delta_net_cudaILi128ELb1ELb1EEvPKfS1_S1_S1_S1_S1_Pfllllllllllll15HIP_vector_typeIjLj3EES4_fi
	.p2align	8
	.type	_Z20gated_delta_net_cudaILi128ELb1ELb1EEvPKfS1_S1_S1_S1_S1_Pfllllllllllll15HIP_vector_typeIjLj3EES4_fi,@function
_Z20gated_delta_net_cudaILi128ELb1ELb1EEvPKfS1_S1_S1_S1_S1_Pfllllllllllll15HIP_vector_typeIjLj3EES4_fi: ; @_Z20gated_delta_net_cudaILi128ELb1ELb1EEvPKfS1_S1_S1_S1_S1_Pfllllllllllll15HIP_vector_typeIjLj3EES4_fi
; %bb.0:
	s_load_b512 s[4:19], s[0:1], 0x40
	s_wait_kmcnt 0x0
	v_cmp_lt_i64_e64 s2, s[4:5], 1
	s_and_b32 vcc_lo, exec_lo, s2
	s_cbranch_vccnz .LBB3_7
; %bb.1:
	s_clause 0x1
	s_load_u16 s21, s[0:1], 0xc6
	s_load_b512 s[36:51], s[0:1], 0x0
	s_bfe_u32 s2, ttmp6, 0x40014
	s_lshr_b32 s3, ttmp7, 16
	s_add_co_i32 s2, s2, 1
	s_bfe_u32 s20, ttmp6, 0x40008
	s_mul_i32 s2, s3, s2
	s_bfe_u32 s23, ttmp6, 0x40010
	s_add_co_i32 s20, s20, s2
	s_bfe_u32 s2, ttmp6, 0x4000c
	s_and_b32 s24, ttmp7, 0xffff
	s_add_co_i32 s2, s2, 1
	s_add_co_i32 s23, s23, 1
	s_and_b32 s22, ttmp6, 15
	s_mul_i32 s2, ttmp9, s2
	s_mul_i32 s23, s24, s23
	s_bfe_u32 s25, ttmp6, 0x40004
	s_add_co_i32 s22, s22, s2
	s_getreg_b32 s2, hwreg(HW_REG_IB_STS2, 6, 4)
	s_add_co_i32 s25, s25, s23
	v_bfe_u32 v1, v0, 10, 10
	s_cmp_eq_u32 s2, 0
	v_and_b32_e32 v17, 0x3ff, v0
	s_cselect_b32 s2, s3, s20
	s_mov_b32 s3, 0
	s_wait_kmcnt 0x0
	v_mad_u32 v6, s2, s21, v1
	s_cselect_b32 s2, s24, s25
	s_cselect_b32 s26, ttmp9, s22
	s_mul_u64 s[34:35], s[50:51], s[2:3]
	s_mov_b32 s21, s3
	s_lshl_b32 s20, s26, 14
	s_lshl_b64 s[22:23], s[34:35], 16
	v_mov_b32_e32 v1, 0
	s_lshl_b64 s[20:21], s[20:21], 2
	s_add_nc_u64 s[22:23], s[46:47], s[22:23]
	s_mul_u64 s[52:53], s[50:51], s[6:7]
	v_lshlrev_b32_e32 v8, 7, v6
	s_add_nc_u64 s[20:21], s[22:23], s[20:21]
	v_lshlrev_b32_e32 v0, 2, v17
	s_mov_b32 s27, s3
	s_mul_u64 s[6:7], s[52:53], s[4:5]
	v_ashrrev_i32_e32 v9, 31, v8
	s_lshl_b64 s[10:11], s[10:11], 2
	s_lshl_b64 s[16:17], s[16:17], 2
	s_delay_alu instid0(VALU_DEP_1) | instskip(SKIP_2) | instid1(VALU_DEP_3)
	v_lshl_add_u64 v[2:3], v[8:9], 2, s[20:21]
	v_mbcnt_lo_u32_b32 v9, -1, 0
	v_or_b32_e32 v8, v8, v17
	v_add_nc_u64_e32 v[10:11], v[2:3], v[0:1]
	s_clause 0x3
	global_load_b32 v4, v[10:11], off
	global_load_b32 v5, v[10:11], off offset:128
	global_load_b32 v2, v[10:11], off offset:256
	;; [unrolled: 1-line block ×3, first 2 shown]
	s_wait_xcnt 0x0
	v_xor_b32_e32 v10, 8, v9
	v_xor_b32_e32 v7, 16, v9
	s_clause 0x4
	s_load_b128 s[28:31], s[0:1], 0x98
	s_load_b32 s33, s[0:1], 0xa8
	s_load_b64 s[24:25], s[0:1], 0xb0
	s_load_b64 s[46:47], s[0:1], 0x90
	s_load_b128 s[20:23], s[0:1], 0x80
	v_xor_b32_e32 v11, 4, v9
	s_wait_xcnt 0x0
	s_mul_u64 s[0:1], s[34:35], s[4:5]
	s_add_nc_u64 s[34:35], s[34:35], s[26:27]
	v_cmp_gt_i32_e32 vcc_lo, 32, v7
	s_add_nc_u64 s[0:1], s[0:1], s[26:27]
	s_delay_alu instid0(SALU_CYCLE_1) | instskip(SKIP_4) | instid1(VALU_DEP_1)
	s_lshl_b64 s[54:55], s[0:1], 9
	s_lshl_b64 s[0:1], s[6:7], 9
	v_cndmask_b32_e32 v7, v9, v7, vcc_lo
	s_add_nc_u64 s[56:57], s[48:49], s[0:1]
	s_mov_b32 s7, s3
	v_lshlrev_b32_e32 v12, 2, v7
	v_cmp_gt_i32_e32 vcc_lo, 32, v10
	s_wait_kmcnt 0x0
	s_mul_hi_u32 s28, s28, s26
	s_mul_hi_u32 s31, s31, s2
	s_add_co_i32 s0, s26, s28
	s_add_co_i32 s1, s2, s31
	v_dual_cndmask_b32 v13, v9, v10, vcc_lo :: v_dual_bitop2_b32 v10, 2, v9 bitop3:0x14
	v_ashrrev_i32_e32 v7, 31, v6
	v_cmp_gt_i32_e32 vcc_lo, 32, v11
	s_lshr_b32 s6, s0, s29
	v_xor_b32_e32 v14, 1, v9
	s_lshr_b32 s0, s1, s33
	s_mul_i32 s6, s6, s30
	v_cndmask_b32_e32 v15, v9, v11, vcc_lo
	v_cmp_gt_i32_e32 vcc_lo, 32, v10
	s_mov_b32 s1, s3
	s_sub_co_i32 s6, s26, s6
	s_mul_u64 s[0:1], s[12:13], s[0:1]
	s_mul_u64 s[6:7], s[8:9], s[6:7]
	v_dual_cndmask_b32 v16, v9, v10 :: v_dual_lshlrev_b32 v13, 2, v13
	v_cmp_gt_i32_e32 vcc_lo, 32, v14
	s_lshl_b64 s[0:1], s[0:1], 2
	s_lshl_b64 s[12:13], s[6:7], 2
	s_add_nc_u64 s[8:9], s[36:37], s[0:1]
	s_add_nc_u64 s[0:1], s[38:39], s[0:1]
	s_add_nc_u64 s[6:7], s[8:9], s[12:13]
	s_add_nc_u64 s[8:9], s[0:1], s[12:13]
	s_mul_u64 s[0:1], s[18:19], s[2:3]
	v_lshlrev_b64_e32 v[10:11], 2, v[6:7]
	v_cndmask_b32_e32 v6, v9, v14, vcc_lo
	s_lshl_b64 s[0:1], s[0:1], 2
	s_mul_u64 s[12:13], s[14:15], s[26:27]
	s_add_nc_u64 s[0:1], s[40:41], s[0:1]
	s_lshl_b64 s[12:13], s[12:13], 2
	v_dual_lshlrev_b32 v14, 2, v15 :: v_dual_lshlrev_b32 v15, 2, v16
	v_dual_lshlrev_b32 v16, 2, v6 :: v_dual_ashrrev_i32 v9, 31, v8
	s_add_nc_u64 s[0:1], s[0:1], s[12:13]
	s_lshl_b64 s[12:13], s[34:35], 16
	s_mul_u64 s[18:19], s[20:21], s[26:27]
	s_add_nc_u64 s[20:21], s[56:57], s[12:13]
	s_mul_u64 s[14:15], s[46:47], s[2:3]
	v_lshl_add_u64 v[8:9], v[8:9], 2, s[20:21]
	s_add_nc_u64 s[20:21], s[48:49], s[54:55]
	v_add_nc_u64_e32 v[6:7], s[0:1], v[10:11]
	v_add_nc_u64_e32 v[10:11], s[20:21], v[10:11]
	s_add_nc_u64 s[26:27], s[14:15], s[18:19]
	v_cmp_eq_u32_e64 s0, 0, v17
	s_lshl_b64 s[18:19], s[26:27], 9
	s_lshl_b64 s[26:27], s[26:27], 2
	;; [unrolled: 1-line block ×3, first 2 shown]
	s_add_co_i32 s2, s4, -1
	s_lshl_b64 s[14:15], s[50:51], 9
	s_add_nc_u64 s[18:19], s[42:43], s[18:19]
	s_lshl_b64 s[20:21], s[22:23], 9
	s_add_nc_u64 s[26:27], s[44:45], s[26:27]
	s_lshl_b64 s[22:23], s[22:23], 2
	s_mov_b64 s[28:29], 0
	s_branch .LBB3_3
.LBB3_2:                                ;   in Loop: Header=BB3_3 Depth=1
	s_add_nc_u64 s[28:29], s[28:29], 1
	v_add_nc_u64_e32 v[10:11], s[14:15], v[10:11]
	v_cmp_le_i64_e64 s1, s[4:5], s[28:29]
	v_add_nc_u64_e32 v[6:7], s[16:17], v[6:7]
	s_add_co_i32 s2, s2, -1
	s_add_nc_u64 s[6:7], s[6:7], s[10:11]
	s_add_nc_u64 s[18:19], s[18:19], s[20:21]
	;; [unrolled: 1-line block ×4, first 2 shown]
	s_and_b32 vcc_lo, exec_lo, s1
	s_cbranch_vccnz .LBB3_7
.LBB3_3:                                ; =>This Inner Loop Header: Depth=1
	s_wait_dscnt 0x0
	s_wait_xcnt 0x0
	v_add_nc_u64_e32 v[18:19], s[18:19], v[0:1]
	s_clause 0x3
	global_load_b32 v17, v[18:19], off
	global_load_b32 v24, v[18:19], off offset:128
	global_load_b32 v25, v[18:19], off offset:256
	;; [unrolled: 1-line block ×3, first 2 shown]
	s_wait_xcnt 0x0
	v_add_nc_u64_e32 v[18:19], s[8:9], v[0:1]
	s_clause 0x3
	global_load_b32 v20, v[18:19], off
	global_load_b32 v22, v[18:19], off offset:256
	global_load_b32 v23, v[18:19], off offset:384
	;; [unrolled: 1-line block ×3, first 2 shown]
	global_load_b32 v28, v[6:7], off
	global_load_b32 v29, v1, s[26:27]
	s_wait_xcnt 0x2
	v_add_nc_u64_e32 v[18:19], s[6:7], v[0:1]
	s_clause 0x3
	global_load_b32 v30, v[18:19], off
	global_load_b32 v31, v[18:19], off offset:128
	global_load_b32 v32, v[18:19], off offset:256
	;; [unrolled: 1-line block ×3, first 2 shown]
	s_wait_loadcnt 0xc
	s_wait_xcnt 0x0
	v_dual_mul_f32 v18, 0x3fb8aa3b, v17 :: v_dual_mul_f32 v19, 0x3fb8aa3b, v24
	s_wait_loadcnt 0xa
	v_dual_mul_f32 v27, 0x3fb8aa3b, v25 :: v_dual_mul_f32 v34, 0x3fb8aa3b, v26
	v_cmp_ngt_f32_e32 vcc_lo, 0xc2ce8ed0, v17
	s_delay_alu instid0(VALU_DEP_3)
	v_fma_f32 v35, 0x3fb8aa3b, v17, -v18
	v_rndne_f32_e32 v36, v18
	v_fma_f32 v37, 0x3fb8aa3b, v24, -v19
	v_rndne_f32_e32 v38, v19
	;; [unrolled: 2-line block ×3, first 2 shown]
	v_dual_fmac_f32 v35, 0x32a5705f, v17 :: v_dual_sub_f32 v18, v18, v36
	v_rndne_f32_e32 v40, v27
	s_delay_alu instid0(VALU_DEP_3) | instskip(NEXT) | instid1(VALU_DEP_3)
	v_dual_fmac_f32 v37, 0x32a5705f, v24 :: v_dual_sub_f32 v34, v34, v42
	v_dual_sub_f32 v19, v19, v38 :: v_dual_add_f32 v18, v18, v35
	v_fmac_f32_e32 v41, 0x32a5705f, v26
	v_fma_f32 v39, 0x3fb8aa3b, v25, -v27
	v_sub_f32_e32 v27, v27, v40
	v_cvt_i32_f32_e32 v36, v36
	v_exp_f32_e32 v18, v18
	v_add_f32_e32 v34, v34, v41
	v_add_f32_e32 v19, v19, v37
	v_cvt_i32_f32_e32 v35, v38
	v_cvt_i32_f32_e32 v38, v42
	;; [unrolled: 1-line block ×3, first 2 shown]
	v_exp_f32_e32 v34, v34
	v_ldexp_f32 v18, v18, v36
	v_fmac_f32_e32 v39, 0x32a5705f, v25
	v_exp_f32_e32 v19, v19
	s_delay_alu instid0(VALU_DEP_2) | instskip(NEXT) | instid1(TRANS32_DEP_2)
	v_cndmask_b32_e32 v18, 0, v18, vcc_lo
	v_ldexp_f32 v34, v34, v38
	s_delay_alu instid0(VALU_DEP_3) | instskip(SKIP_1) | instid1(TRANS32_DEP_1)
	v_add_f32_e32 v27, v27, v39
	v_cmp_ngt_f32_e32 vcc_lo, 0xc2ce8ed0, v24
	v_ldexp_f32 v19, v19, v35
	s_delay_alu instid0(VALU_DEP_3) | instskip(NEXT) | instid1(VALU_DEP_1)
	v_exp_f32_e32 v27, v27
	v_cndmask_b32_e32 v19, 0, v19, vcc_lo
	v_cmp_ngt_f32_e32 vcc_lo, 0xc2ce8ed0, v25
	s_delay_alu instid0(TRANS32_DEP_1) | instskip(NEXT) | instid1(VALU_DEP_1)
	v_ldexp_f32 v27, v27, v37
	v_cndmask_b32_e32 v27, 0, v27, vcc_lo
	v_cmp_ngt_f32_e32 vcc_lo, 0xc2ce8ed0, v26
	v_cndmask_b32_e32 v34, 0, v34, vcc_lo
	v_cmp_nlt_f32_e32 vcc_lo, 0x42b17218, v17
	v_cndmask_b32_e32 v18, 0x7f800000, v18, vcc_lo
	v_cmp_nlt_f32_e32 vcc_lo, 0x42b17218, v24
	v_cndmask_b32_e32 v19, 0x7f800000, v19, vcc_lo
	v_cmp_nlt_f32_e32 vcc_lo, 0x42b17218, v25
	s_delay_alu instid0(VALU_DEP_2)
	v_mul_f32_e32 v17, v5, v19
	v_cndmask_b32_e32 v24, 0x7f800000, v27, vcc_lo
	v_cmp_nlt_f32_e32 vcc_lo, 0x42b17218, v26
	v_pk_mul_f32 v[26:27], v[4:5], v[18:19]
	v_cndmask_b32_e32 v25, 0x7f800000, v34, vcc_lo
	s_wait_loadcnt 0x9
	s_delay_alu instid0(VALU_DEP_2) | instskip(NEXT) | instid1(VALU_DEP_2)
	v_fma_f32 v18, v20, v26, 0
	v_pk_mul_f32 v[4:5], v[2:3], v[24:25]
	s_wait_loadcnt 0x6
	s_delay_alu instid0(VALU_DEP_2) | instskip(NEXT) | instid1(VALU_DEP_2)
	v_fmac_f32_e32 v18, v21, v17
	v_pk_mul_f32 v[4:5], v[22:23], v[4:5]
	s_delay_alu instid0(VALU_DEP_1) | instskip(NEXT) | instid1(VALU_DEP_1)
	v_add_f32_e32 v4, v18, v4
	v_add_f32_e32 v4, v4, v5
	ds_bpermute_b32 v5, v12, v4
	s_wait_dscnt 0x0
	v_add_f32_e32 v4, v4, v5
	ds_bpermute_b32 v5, v13, v4
	s_wait_dscnt 0x0
	;; [unrolled: 3-line block ×5, first 2 shown]
	v_add_f32_e32 v4, v4, v5
	s_wait_loadcnt 0x5
	s_delay_alu instid0(VALU_DEP_1) | instskip(SKIP_1) | instid1(VALU_DEP_1)
	v_sub_f32_e32 v4, v28, v4
	s_wait_loadcnt 0x4
	v_mul_f32_e32 v18, v29, v4
	s_delay_alu instid0(VALU_DEP_1) | instskip(SKIP_3) | instid1(VALU_DEP_3)
	v_pk_fma_f32 v[4:5], v[18:19], v[20:21], v[26:27] op_sel_hi:[0,1,1]
	v_dual_mov_b32 v19, v3 :: v_dual_mul_f32 v2, v2, v24
	v_mov_b32_e32 v24, v23
	s_wait_loadcnt 0x3
	v_fma_f32 v17, v30, v4, 0
	s_delay_alu instid0(VALU_DEP_2) | instskip(SKIP_1) | instid1(VALU_DEP_1)
	v_pk_mul_f32 v[20:21], v[18:19], v[24:25]
	s_wait_loadcnt 0x2
	v_dual_fmac_f32 v17, v31, v5 :: v_dual_mov_b32 v19, v20
	s_delay_alu instid0(VALU_DEP_2) | instskip(NEXT) | instid1(VALU_DEP_1)
	v_dual_mul_f32 v18, v18, v22 :: v_dual_mov_b32 v3, v21
	v_pk_add_f32 v[2:3], v[18:19], v[2:3]
	s_wait_loadcnt 0x1
	s_delay_alu instid0(VALU_DEP_1) | instskip(SKIP_1) | instid1(VALU_DEP_1)
	v_fmac_f32_e32 v17, v32, v2
	s_wait_loadcnt 0x0
	v_fmac_f32_e32 v17, v33, v3
	ds_bpermute_b32 v18, v12, v17
	s_wait_dscnt 0x0
	v_add_f32_e32 v17, v17, v18
	ds_bpermute_b32 v18, v13, v17
	s_wait_dscnt 0x0
	v_add_f32_e32 v17, v17, v18
	;; [unrolled: 3-line block ×4, first 2 shown]
	ds_bpermute_b32 v18, v16, v17
	s_and_saveexec_b32 s1, s0
	s_cbranch_execz .LBB3_5
; %bb.4:                                ;   in Loop: Header=BB3_3 Depth=1
	s_wait_dscnt 0x0
	v_add_f32_e32 v17, v17, v18
	s_delay_alu instid0(VALU_DEP_1)
	v_mul_f32_e32 v17, s24, v17
	global_store_b32 v[10:11], v17, off
.LBB3_5:                                ;   in Loop: Header=BB3_3 Depth=1
	s_wait_xcnt 0x0
	s_or_b32 exec_lo, exec_lo, s1
	s_cmp_lt_i32 s2, 0
	s_cselect_b32 s1, -1, 0
	s_cmp_ge_i32 s2, s25
	s_cselect_b32 s30, -1, 0
	s_delay_alu instid0(SALU_CYCLE_1) | instskip(NEXT) | instid1(SALU_CYCLE_1)
	s_or_b32 s1, s1, s30
	s_and_b32 vcc_lo, exec_lo, s1
	s_cbranch_vccnz .LBB3_2
; %bb.6:                                ;   in Loop: Header=BB3_3 Depth=1
	s_mul_u64 s[30:31], s[12:13], s[2:3]
	s_wait_dscnt 0x0
	v_lshl_add_u64 v[18:19], s[30:31], 2, v[8:9]
	s_clause 0x3
	global_store_b32 v[18:19], v4, off
	global_store_b32 v[18:19], v5, off offset:128
	global_store_b32 v[18:19], v2, off offset:256
	;; [unrolled: 1-line block ×3, first 2 shown]
	s_branch .LBB3_2
.LBB3_7:
	s_endpgm
	.section	.rodata,"a",@progbits
	.p2align	6, 0x0
	.amdhsa_kernel _Z20gated_delta_net_cudaILi128ELb1ELb1EEvPKfS1_S1_S1_S1_S1_Pfllllllllllll15HIP_vector_typeIjLj3EES4_fi
		.amdhsa_group_segment_fixed_size 0
		.amdhsa_private_segment_fixed_size 0
		.amdhsa_kernarg_size 440
		.amdhsa_user_sgpr_count 2
		.amdhsa_user_sgpr_dispatch_ptr 0
		.amdhsa_user_sgpr_queue_ptr 0
		.amdhsa_user_sgpr_kernarg_segment_ptr 1
		.amdhsa_user_sgpr_dispatch_id 0
		.amdhsa_user_sgpr_kernarg_preload_length 0
		.amdhsa_user_sgpr_kernarg_preload_offset 0
		.amdhsa_user_sgpr_private_segment_size 0
		.amdhsa_wavefront_size32 1
		.amdhsa_uses_dynamic_stack 0
		.amdhsa_enable_private_segment 0
		.amdhsa_system_sgpr_workgroup_id_x 1
		.amdhsa_system_sgpr_workgroup_id_y 1
		.amdhsa_system_sgpr_workgroup_id_z 1
		.amdhsa_system_sgpr_workgroup_info 0
		.amdhsa_system_vgpr_workitem_id 1
		.amdhsa_next_free_vgpr 43
		.amdhsa_next_free_sgpr 58
		.amdhsa_named_barrier_count 0
		.amdhsa_reserve_vcc 1
		.amdhsa_float_round_mode_32 0
		.amdhsa_float_round_mode_16_64 0
		.amdhsa_float_denorm_mode_32 3
		.amdhsa_float_denorm_mode_16_64 3
		.amdhsa_fp16_overflow 0
		.amdhsa_memory_ordered 1
		.amdhsa_forward_progress 1
		.amdhsa_inst_pref_size 15
		.amdhsa_round_robin_scheduling 0
		.amdhsa_exception_fp_ieee_invalid_op 0
		.amdhsa_exception_fp_denorm_src 0
		.amdhsa_exception_fp_ieee_div_zero 0
		.amdhsa_exception_fp_ieee_overflow 0
		.amdhsa_exception_fp_ieee_underflow 0
		.amdhsa_exception_fp_ieee_inexact 0
		.amdhsa_exception_int_div_zero 0
	.end_amdhsa_kernel
	.section	.text._Z20gated_delta_net_cudaILi128ELb1ELb1EEvPKfS1_S1_S1_S1_S1_Pfllllllllllll15HIP_vector_typeIjLj3EES4_fi,"axG",@progbits,_Z20gated_delta_net_cudaILi128ELb1ELb1EEvPKfS1_S1_S1_S1_S1_Pfllllllllllll15HIP_vector_typeIjLj3EES4_fi,comdat
.Lfunc_end3:
	.size	_Z20gated_delta_net_cudaILi128ELb1ELb1EEvPKfS1_S1_S1_S1_S1_Pfllllllllllll15HIP_vector_typeIjLj3EES4_fi, .Lfunc_end3-_Z20gated_delta_net_cudaILi128ELb1ELb1EEvPKfS1_S1_S1_S1_S1_Pfllllllllllll15HIP_vector_typeIjLj3EES4_fi
                                        ; -- End function
	.set _Z20gated_delta_net_cudaILi128ELb1ELb1EEvPKfS1_S1_S1_S1_S1_Pfllllllllllll15HIP_vector_typeIjLj3EES4_fi.num_vgpr, 43
	.set _Z20gated_delta_net_cudaILi128ELb1ELb1EEvPKfS1_S1_S1_S1_S1_Pfllllllllllll15HIP_vector_typeIjLj3EES4_fi.num_agpr, 0
	.set _Z20gated_delta_net_cudaILi128ELb1ELb1EEvPKfS1_S1_S1_S1_S1_Pfllllllllllll15HIP_vector_typeIjLj3EES4_fi.numbered_sgpr, 58
	.set _Z20gated_delta_net_cudaILi128ELb1ELb1EEvPKfS1_S1_S1_S1_S1_Pfllllllllllll15HIP_vector_typeIjLj3EES4_fi.num_named_barrier, 0
	.set _Z20gated_delta_net_cudaILi128ELb1ELb1EEvPKfS1_S1_S1_S1_S1_Pfllllllllllll15HIP_vector_typeIjLj3EES4_fi.private_seg_size, 0
	.set _Z20gated_delta_net_cudaILi128ELb1ELb1EEvPKfS1_S1_S1_S1_S1_Pfllllllllllll15HIP_vector_typeIjLj3EES4_fi.uses_vcc, 1
	.set _Z20gated_delta_net_cudaILi128ELb1ELb1EEvPKfS1_S1_S1_S1_S1_Pfllllllllllll15HIP_vector_typeIjLj3EES4_fi.uses_flat_scratch, 0
	.set _Z20gated_delta_net_cudaILi128ELb1ELb1EEvPKfS1_S1_S1_S1_S1_Pfllllllllllll15HIP_vector_typeIjLj3EES4_fi.has_dyn_sized_stack, 0
	.set _Z20gated_delta_net_cudaILi128ELb1ELb1EEvPKfS1_S1_S1_S1_S1_Pfllllllllllll15HIP_vector_typeIjLj3EES4_fi.has_recursion, 0
	.set _Z20gated_delta_net_cudaILi128ELb1ELb1EEvPKfS1_S1_S1_S1_S1_Pfllllllllllll15HIP_vector_typeIjLj3EES4_fi.has_indirect_call, 0
	.section	.AMDGPU.csdata,"",@progbits
; Kernel info:
; codeLenInByte = 1832
; TotalNumSgprs: 60
; NumVgprs: 43
; ScratchSize: 0
; MemoryBound: 0
; FloatMode: 240
; IeeeMode: 1
; LDSByteSize: 0 bytes/workgroup (compile time only)
; SGPRBlocks: 0
; VGPRBlocks: 2
; NumSGPRsForWavesPerEU: 60
; NumVGPRsForWavesPerEU: 43
; NamedBarCnt: 0
; Occupancy: 16
; WaveLimiterHint : 1
; COMPUTE_PGM_RSRC2:SCRATCH_EN: 0
; COMPUTE_PGM_RSRC2:USER_SGPR: 2
; COMPUTE_PGM_RSRC2:TRAP_HANDLER: 0
; COMPUTE_PGM_RSRC2:TGID_X_EN: 1
; COMPUTE_PGM_RSRC2:TGID_Y_EN: 1
; COMPUTE_PGM_RSRC2:TGID_Z_EN: 1
; COMPUTE_PGM_RSRC2:TIDIG_COMP_CNT: 1
	.section	.text._Z20gated_delta_net_cudaILi16ELb1ELb0EEvPKfS1_S1_S1_S1_S1_Pfllllllllllll15HIP_vector_typeIjLj3EES4_fi,"axG",@progbits,_Z20gated_delta_net_cudaILi16ELb1ELb0EEvPKfS1_S1_S1_S1_S1_Pfllllllllllll15HIP_vector_typeIjLj3EES4_fi,comdat
	.protected	_Z20gated_delta_net_cudaILi16ELb1ELb0EEvPKfS1_S1_S1_S1_S1_Pfllllllllllll15HIP_vector_typeIjLj3EES4_fi ; -- Begin function _Z20gated_delta_net_cudaILi16ELb1ELb0EEvPKfS1_S1_S1_S1_S1_Pfllllllllllll15HIP_vector_typeIjLj3EES4_fi
	.globl	_Z20gated_delta_net_cudaILi16ELb1ELb0EEvPKfS1_S1_S1_S1_S1_Pfllllllllllll15HIP_vector_typeIjLj3EES4_fi
	.p2align	8
	.type	_Z20gated_delta_net_cudaILi16ELb1ELb0EEvPKfS1_S1_S1_S1_S1_Pfllllllllllll15HIP_vector_typeIjLj3EES4_fi,@function
_Z20gated_delta_net_cudaILi16ELb1ELb0EEvPKfS1_S1_S1_S1_S1_Pfllllllllllll15HIP_vector_typeIjLj3EES4_fi: ; @_Z20gated_delta_net_cudaILi16ELb1ELb0EEvPKfS1_S1_S1_S1_S1_Pfllllllllllll15HIP_vector_typeIjLj3EES4_fi
; %bb.0:
	s_load_u16 s3, s[0:1], 0xc6
	s_bfe_u32 s2, ttmp6, 0x40010
	s_and_b32 s20, ttmp7, 0xffff
	s_add_co_i32 s2, s2, 1
	s_bfe_u32 s21, ttmp6, 0x40004
	s_mul_i32 s2, s20, s2
	s_bfe_u32 s23, ttmp6, 0x40014
	s_add_co_i32 s22, s21, s2
	s_bfe_u32 s2, ttmp6, 0x4000c
	s_lshr_b32 s24, ttmp7, 16
	s_add_co_i32 s2, s2, 1
	s_add_co_i32 s23, s23, 1
	s_and_b32 s21, ttmp6, 15
	s_mul_i32 s2, ttmp9, s2
	s_load_b512 s[4:19], s[0:1], 0x0
	s_mul_i32 s23, s24, s23
	s_bfe_u32 s25, ttmp6, 0x40008
	s_add_co_i32 s2, s21, s2
	s_getreg_b32 s21, hwreg(HW_REG_IB_STS2, 6, 4)
	s_add_co_i32 s25, s25, s23
	v_bfe_u32 v1, v0, 10, 10
	s_cmp_eq_u32 s21, 0
	v_and_b32_e32 v12, 0x3ff, v0
	s_cselect_b32 s21, s24, s25
	s_cselect_b32 s30, s20, s22
	s_wait_kmcnt 0x0
	v_mad_u32 v4, s21, s3, v1
	s_mov_b32 s3, 0
	s_cselect_b32 s2, ttmp9, s2
	s_mov_b32 s31, s3
	s_mov_b32 s21, s3
	s_lshl_b32 s20, s2, 8
	v_mov_b32_e32 v3, 0
	s_lshl_b64 s[20:21], s[20:21], 2
	v_lshlrev_b32_e32 v2, 2, v12
	s_mul_u64 s[28:29], s[18:19], s[30:31]
	s_load_b512 s[36:51], s[0:1], 0x40
	v_lshlrev_b32_e32 v0, 4, v4
	s_lshl_b64 s[22:23], s[28:29], 10
	s_delay_alu instid0(SALU_CYCLE_1) | instskip(NEXT) | instid1(VALU_DEP_1)
	s_add_nc_u64 s[14:15], s[14:15], s[22:23]
	v_ashrrev_i32_e32 v1, 31, v0
	s_add_nc_u64 s[14:15], s[14:15], s[20:21]
	s_delay_alu instid0(VALU_DEP_1) | instid1(SALU_CYCLE_1)
	v_lshl_add_u64 v[6:7], v[0:1], 2, s[14:15]
	s_delay_alu instid0(VALU_DEP_1)
	v_add_nc_u64_e32 v[6:7], v[6:7], v[2:3]
	s_wait_kmcnt 0x0
	v_cmp_lt_i64_e64 s14, s[36:37], 1
	global_load_b32 v1, v[6:7], off
	s_and_b32 vcc_lo, exec_lo, s14
	s_cbranch_vccnz .LBB4_5
; %bb.1:
	s_wait_xcnt 0x0
	v_mbcnt_lo_u32_b32 v6, -1, 0
	s_clause 0x4
	s_load_b128 s[24:27], s[0:1], 0x98
	s_load_b128 s[20:23], s[0:1], 0x80
	s_load_b64 s[14:15], s[0:1], 0x90
	s_load_b32 s54, s[0:1], 0xa8
	s_load_b32 s33, s[0:1], 0xb0
	s_mul_u64 s[50:51], s[50:51], s[30:31]
	s_wait_xcnt 0x0
	s_mul_u64 s[0:1], s[28:29], s[36:37]
	s_mul_u64 s[46:47], s[46:47], s[2:3]
	v_xor_b32_e32 v8, 4, v6
	v_and_b32_e32 v5, 16, v6
	s_lshl_b64 s[50:51], s[50:51], 2
	v_xor_b32_e32 v9, 2, v6
	s_mov_b32 s53, s3
	s_add_nc_u64 s[0:1], s[0:1], s[2:3]
	v_dual_add_nc_u32 v7, 16, v5 :: v_dual_bitop2_b32 v5, 8, v6 bitop3:0x14
	s_lshl_b64 s[46:47], s[46:47], 2
	s_add_nc_u64 s[8:9], s[8:9], s[50:51]
	s_lshl_b64 s[50:51], s[0:1], 6
	s_add_nc_u64 s[0:1], s[8:9], s[46:47]
	v_cmp_lt_i32_e32 vcc_lo, v5, v7
	s_wait_kmcnt 0x0
	s_mov_b32 s52, s24
	s_mov_b32 s35, s3
	s_mul_u64 s[8:9], s[52:53], s[2:3]
	s_mov_b32 s34, s27
	v_cndmask_b32_e32 v10, v6, v5, vcc_lo
	v_cmp_lt_i32_e32 vcc_lo, v8, v7
	v_ashrrev_i32_e32 v5, 31, v4
	s_add_co_i32 s24, s2, s9
	s_mul_u64 s[8:9], s[34:35], s[30:31]
	s_lshr_b32 s8, s24, s25
	v_cndmask_b32_e32 v8, v6, v8, vcc_lo
	v_cmp_lt_i32_e32 vcc_lo, v9, v7
	v_xor_b32_e32 v11, 1, v6
	s_add_co_i32 s9, s30, s9
	s_mul_i32 s8, s8, s26
	s_mov_b32 s55, s3
	v_cndmask_b32_e32 v9, v6, v9, vcc_lo
	v_cmp_lt_i32_e32 vcc_lo, v11, v7
	s_mov_b32 s57, s3
	s_lshr_b32 s54, s9, s54
	s_sub_co_i32 s56, s2, s8
	s_mul_u64 s[14:15], s[14:15], s[30:31]
	s_mul_u64 s[20:21], s[20:21], s[2:3]
	;; [unrolled: 1-line block ×4, first 2 shown]
	v_dual_cndmask_b32 v6, v6, v11 :: v_dual_lshlrev_b32 v13, 2, v10
	v_lshlrev_b64_e32 v[10:11], 2, v[4:5]
	s_lshl_b64 s[8:9], s[8:9], 2
	s_lshl_b64 s[24:25], s[24:25], 2
	s_add_nc_u64 s[20:21], s[14:15], s[20:21]
	s_add_nc_u64 s[8:9], s[8:9], s[24:25]
	s_lshl_b64 s[24:25], s[20:21], 6
	v_dual_lshlrev_b32 v14, 2, v8 :: v_dual_lshlrev_b32 v15, 2, v9
	s_add_nc_u64 s[10:11], s[10:11], s[24:25]
	s_add_nc_u64 s[24:25], s[16:17], s[50:51]
	v_lshlrev_b32_e32 v16, 2, v6
	v_add_nc_u64_e32 v[4:5], s[0:1], v[10:11]
	v_add_nc_u64_e32 v[6:7], s[8:9], v[2:3]
	;; [unrolled: 1-line block ×4, first 2 shown]
	v_cmp_eq_u32_e64 s0, 0, v12
	s_lshl_b64 s[20:21], s[20:21], 2
	s_lshl_b64 s[8:9], s[42:43], 2
	;; [unrolled: 1-line block ×3, first 2 shown]
	s_add_nc_u64 s[10:11], s[12:13], s[20:21]
	s_lshl_b64 s[12:13], s[22:23], 2
	s_lshl_b64 s[20:21], s[22:23], 6
	;; [unrolled: 1-line block ×3, first 2 shown]
	s_mov_b64 s[24:25], 0
	s_branch .LBB4_3
.LBB4_2:                                ;   in Loop: Header=BB4_3 Depth=1
	s_wait_xcnt 0x0
	s_or_b32 exec_lo, exec_lo, s1
	s_add_nc_u64 s[24:25], s[24:25], 1
	v_add_nc_u64_e32 v[6:7], s[8:9], v[6:7]
	v_cmp_le_i64_e64 s1, s[36:37], s[24:25]
	v_add_nc_u64_e32 v[4:5], s[14:15], v[4:5]
	v_add_nc_u64_e32 v[8:9], s[20:21], v[8:9]
	;; [unrolled: 1-line block ×3, first 2 shown]
	s_add_nc_u64 s[10:11], s[10:11], s[12:13]
	s_and_b32 vcc_lo, exec_lo, s1
	s_cbranch_vccnz .LBB4_5
.LBB4_3:                                ; =>This Inner Loop Header: Depth=1
	global_load_b32 v2, v[8:9], off
	v_add_nc_u64_e32 v[18:19], s[6:7], v[6:7]
	s_wait_dscnt 0x0
	global_load_b32 v17, v[18:19], off
	global_load_b32 v20, v[4:5], off
	global_load_b32 v21, v3, s[10:11]
	s_wait_xcnt 0x2
	v_add_nc_u64_e32 v[18:19], s[4:5], v[6:7]
	global_load_b32 v18, v[18:19], off
	s_wait_loadcnt 0x4
	s_wait_xcnt 0x0
	v_mul_f32_e32 v19, 0x3fb8aa3b, v2
	v_cmp_ngt_f32_e32 vcc_lo, 0xc2ce8ed0, v2
	s_delay_alu instid0(VALU_DEP_2) | instskip(SKIP_1) | instid1(VALU_DEP_2)
	v_rndne_f32_e32 v22, v19
	v_fma_f32 v23, 0x3fb8aa3b, v2, -v19
	v_sub_f32_e32 v19, v19, v22
	s_delay_alu instid0(VALU_DEP_2) | instskip(SKIP_1) | instid1(VALU_DEP_2)
	v_fmac_f32_e32 v23, 0x32a5705f, v2
	v_cvt_i32_f32_e32 v22, v22
	v_add_f32_e32 v19, v19, v23
	s_delay_alu instid0(VALU_DEP_1) | instskip(SKIP_1) | instid1(TRANS32_DEP_1)
	v_exp_f32_e32 v19, v19
	v_nop
	v_ldexp_f32 v19, v19, v22
	s_delay_alu instid0(VALU_DEP_1) | instskip(SKIP_1) | instid1(VALU_DEP_2)
	v_cndmask_b32_e32 v19, 0, v19, vcc_lo
	v_cmp_nlt_f32_e32 vcc_lo, 0x42b17218, v2
	v_cndmask_b32_e32 v2, 0x7f800000, v19, vcc_lo
	s_delay_alu instid0(VALU_DEP_1) | instskip(SKIP_1) | instid1(VALU_DEP_1)
	v_mul_f32_e32 v1, v1, v2
	s_wait_loadcnt 0x3
	v_fma_f32 v2, v17, v1, 0
	ds_bpermute_b32 v19, v13, v2
	s_wait_dscnt 0x0
	v_add_f32_e32 v2, v2, v19
	ds_bpermute_b32 v19, v14, v2
	s_wait_dscnt 0x0
	v_add_f32_e32 v2, v2, v19
	;; [unrolled: 3-line block ×4, first 2 shown]
	s_wait_loadcnt 0x2
	s_delay_alu instid0(VALU_DEP_1) | instskip(SKIP_1) | instid1(VALU_DEP_1)
	v_sub_f32_e32 v2, v20, v2
	s_wait_loadcnt 0x1
	v_mul_f32_e32 v2, v21, v2
	s_delay_alu instid0(VALU_DEP_1) | instskip(SKIP_1) | instid1(VALU_DEP_1)
	v_fmac_f32_e32 v1, v17, v2
	s_wait_loadcnt 0x0
	v_fma_f32 v2, v18, v1, 0
	ds_bpermute_b32 v17, v13, v2
	s_wait_dscnt 0x0
	v_add_f32_e32 v2, v2, v17
	ds_bpermute_b32 v17, v14, v2
	s_wait_dscnt 0x0
	v_add_f32_e32 v2, v2, v17
	;; [unrolled: 3-line block ×3, first 2 shown]
	ds_bpermute_b32 v17, v16, v2
	s_and_saveexec_b32 s1, s0
	s_cbranch_execz .LBB4_2
; %bb.4:                                ;   in Loop: Header=BB4_3 Depth=1
	s_wait_dscnt 0x0
	v_add_f32_e32 v2, v2, v17
	s_delay_alu instid0(VALU_DEP_1)
	v_mul_f32_e32 v2, s33, v2
	global_store_b32 v[10:11], v2, off
	s_branch .LBB4_2
.LBB4_5:
	s_mul_u64 s[0:1], s[18:19], s[36:37]
	s_add_nc_u64 s[2:3], s[28:29], s[2:3]
	s_mul_u64 s[0:1], s[0:1], s[38:39]
	v_add_nc_u32_e32 v0, v0, v12
	s_lshl_b64 s[0:1], s[0:1], 6
	s_lshl_b64 s[2:3], s[2:3], 10
	s_add_nc_u64 s[0:1], s[16:17], s[0:1]
	s_delay_alu instid0(SALU_CYCLE_1)
	s_add_nc_u64 s[0:1], s[0:1], s[2:3]
	s_wait_loadcnt 0x0
	global_store_b32 v0, v1, s[0:1] scale_offset
	s_endpgm
	.section	.rodata,"a",@progbits
	.p2align	6, 0x0
	.amdhsa_kernel _Z20gated_delta_net_cudaILi16ELb1ELb0EEvPKfS1_S1_S1_S1_S1_Pfllllllllllll15HIP_vector_typeIjLj3EES4_fi
		.amdhsa_group_segment_fixed_size 0
		.amdhsa_private_segment_fixed_size 0
		.amdhsa_kernarg_size 440
		.amdhsa_user_sgpr_count 2
		.amdhsa_user_sgpr_dispatch_ptr 0
		.amdhsa_user_sgpr_queue_ptr 0
		.amdhsa_user_sgpr_kernarg_segment_ptr 1
		.amdhsa_user_sgpr_dispatch_id 0
		.amdhsa_user_sgpr_kernarg_preload_length 0
		.amdhsa_user_sgpr_kernarg_preload_offset 0
		.amdhsa_user_sgpr_private_segment_size 0
		.amdhsa_wavefront_size32 1
		.amdhsa_uses_dynamic_stack 0
		.amdhsa_enable_private_segment 0
		.amdhsa_system_sgpr_workgroup_id_x 1
		.amdhsa_system_sgpr_workgroup_id_y 1
		.amdhsa_system_sgpr_workgroup_id_z 1
		.amdhsa_system_sgpr_workgroup_info 0
		.amdhsa_system_vgpr_workitem_id 1
		.amdhsa_next_free_vgpr 24
		.amdhsa_next_free_sgpr 58
		.amdhsa_named_barrier_count 0
		.amdhsa_reserve_vcc 1
		.amdhsa_float_round_mode_32 0
		.amdhsa_float_round_mode_16_64 0
		.amdhsa_float_denorm_mode_32 3
		.amdhsa_float_denorm_mode_16_64 3
		.amdhsa_fp16_overflow 0
		.amdhsa_memory_ordered 1
		.amdhsa_forward_progress 1
		.amdhsa_inst_pref_size 9
		.amdhsa_round_robin_scheduling 0
		.amdhsa_exception_fp_ieee_invalid_op 0
		.amdhsa_exception_fp_denorm_src 0
		.amdhsa_exception_fp_ieee_div_zero 0
		.amdhsa_exception_fp_ieee_overflow 0
		.amdhsa_exception_fp_ieee_underflow 0
		.amdhsa_exception_fp_ieee_inexact 0
		.amdhsa_exception_int_div_zero 0
	.end_amdhsa_kernel
	.section	.text._Z20gated_delta_net_cudaILi16ELb1ELb0EEvPKfS1_S1_S1_S1_S1_Pfllllllllllll15HIP_vector_typeIjLj3EES4_fi,"axG",@progbits,_Z20gated_delta_net_cudaILi16ELb1ELb0EEvPKfS1_S1_S1_S1_S1_Pfllllllllllll15HIP_vector_typeIjLj3EES4_fi,comdat
.Lfunc_end4:
	.size	_Z20gated_delta_net_cudaILi16ELb1ELb0EEvPKfS1_S1_S1_S1_S1_Pfllllllllllll15HIP_vector_typeIjLj3EES4_fi, .Lfunc_end4-_Z20gated_delta_net_cudaILi16ELb1ELb0EEvPKfS1_S1_S1_S1_S1_Pfllllllllllll15HIP_vector_typeIjLj3EES4_fi
                                        ; -- End function
	.set _Z20gated_delta_net_cudaILi16ELb1ELb0EEvPKfS1_S1_S1_S1_S1_Pfllllllllllll15HIP_vector_typeIjLj3EES4_fi.num_vgpr, 24
	.set _Z20gated_delta_net_cudaILi16ELb1ELb0EEvPKfS1_S1_S1_S1_S1_Pfllllllllllll15HIP_vector_typeIjLj3EES4_fi.num_agpr, 0
	.set _Z20gated_delta_net_cudaILi16ELb1ELb0EEvPKfS1_S1_S1_S1_S1_Pfllllllllllll15HIP_vector_typeIjLj3EES4_fi.numbered_sgpr, 58
	.set _Z20gated_delta_net_cudaILi16ELb1ELb0EEvPKfS1_S1_S1_S1_S1_Pfllllllllllll15HIP_vector_typeIjLj3EES4_fi.num_named_barrier, 0
	.set _Z20gated_delta_net_cudaILi16ELb1ELb0EEvPKfS1_S1_S1_S1_S1_Pfllllllllllll15HIP_vector_typeIjLj3EES4_fi.private_seg_size, 0
	.set _Z20gated_delta_net_cudaILi16ELb1ELb0EEvPKfS1_S1_S1_S1_S1_Pfllllllllllll15HIP_vector_typeIjLj3EES4_fi.uses_vcc, 1
	.set _Z20gated_delta_net_cudaILi16ELb1ELb0EEvPKfS1_S1_S1_S1_S1_Pfllllllllllll15HIP_vector_typeIjLj3EES4_fi.uses_flat_scratch, 0
	.set _Z20gated_delta_net_cudaILi16ELb1ELb0EEvPKfS1_S1_S1_S1_S1_Pfllllllllllll15HIP_vector_typeIjLj3EES4_fi.has_dyn_sized_stack, 0
	.set _Z20gated_delta_net_cudaILi16ELb1ELb0EEvPKfS1_S1_S1_S1_S1_Pfllllllllllll15HIP_vector_typeIjLj3EES4_fi.has_recursion, 0
	.set _Z20gated_delta_net_cudaILi16ELb1ELb0EEvPKfS1_S1_S1_S1_S1_Pfllllllllllll15HIP_vector_typeIjLj3EES4_fi.has_indirect_call, 0
	.section	.AMDGPU.csdata,"",@progbits
; Kernel info:
; codeLenInByte = 1132
; TotalNumSgprs: 60
; NumVgprs: 24
; ScratchSize: 0
; MemoryBound: 0
; FloatMode: 240
; IeeeMode: 1
; LDSByteSize: 0 bytes/workgroup (compile time only)
; SGPRBlocks: 0
; VGPRBlocks: 1
; NumSGPRsForWavesPerEU: 60
; NumVGPRsForWavesPerEU: 24
; NamedBarCnt: 0
; Occupancy: 16
; WaveLimiterHint : 0
; COMPUTE_PGM_RSRC2:SCRATCH_EN: 0
; COMPUTE_PGM_RSRC2:USER_SGPR: 2
; COMPUTE_PGM_RSRC2:TRAP_HANDLER: 0
; COMPUTE_PGM_RSRC2:TGID_X_EN: 1
; COMPUTE_PGM_RSRC2:TGID_Y_EN: 1
; COMPUTE_PGM_RSRC2:TGID_Z_EN: 1
; COMPUTE_PGM_RSRC2:TIDIG_COMP_CNT: 1
	.section	.text._Z20gated_delta_net_cudaILi32ELb1ELb0EEvPKfS1_S1_S1_S1_S1_Pfllllllllllll15HIP_vector_typeIjLj3EES4_fi,"axG",@progbits,_Z20gated_delta_net_cudaILi32ELb1ELb0EEvPKfS1_S1_S1_S1_S1_Pfllllllllllll15HIP_vector_typeIjLj3EES4_fi,comdat
	.protected	_Z20gated_delta_net_cudaILi32ELb1ELb0EEvPKfS1_S1_S1_S1_S1_Pfllllllllllll15HIP_vector_typeIjLj3EES4_fi ; -- Begin function _Z20gated_delta_net_cudaILi32ELb1ELb0EEvPKfS1_S1_S1_S1_S1_Pfllllllllllll15HIP_vector_typeIjLj3EES4_fi
	.globl	_Z20gated_delta_net_cudaILi32ELb1ELb0EEvPKfS1_S1_S1_S1_S1_Pfllllllllllll15HIP_vector_typeIjLj3EES4_fi
	.p2align	8
	.type	_Z20gated_delta_net_cudaILi32ELb1ELb0EEvPKfS1_S1_S1_S1_S1_Pfllllllllllll15HIP_vector_typeIjLj3EES4_fi,@function
_Z20gated_delta_net_cudaILi32ELb1ELb0EEvPKfS1_S1_S1_S1_S1_Pfllllllllllll15HIP_vector_typeIjLj3EES4_fi: ; @_Z20gated_delta_net_cudaILi32ELb1ELb0EEvPKfS1_S1_S1_S1_S1_Pfllllllllllll15HIP_vector_typeIjLj3EES4_fi
; %bb.0:
	s_load_u16 s3, s[0:1], 0xc6
	s_bfe_u32 s2, ttmp6, 0x40010
	s_and_b32 s20, ttmp7, 0xffff
	s_add_co_i32 s2, s2, 1
	s_bfe_u32 s21, ttmp6, 0x40004
	s_mul_i32 s2, s20, s2
	s_bfe_u32 s23, ttmp6, 0x40014
	s_add_co_i32 s22, s21, s2
	s_bfe_u32 s2, ttmp6, 0x4000c
	s_lshr_b32 s24, ttmp7, 16
	s_add_co_i32 s2, s2, 1
	s_add_co_i32 s23, s23, 1
	s_and_b32 s21, ttmp6, 15
	s_mul_i32 s2, ttmp9, s2
	s_load_b512 s[4:19], s[0:1], 0x0
	s_mul_i32 s23, s24, s23
	s_bfe_u32 s25, ttmp6, 0x40008
	s_add_co_i32 s2, s21, s2
	s_getreg_b32 s21, hwreg(HW_REG_IB_STS2, 6, 4)
	s_add_co_i32 s25, s25, s23
	v_bfe_u32 v1, v0, 10, 10
	s_cmp_eq_u32 s21, 0
	v_and_b32_e32 v12, 0x3ff, v0
	s_cselect_b32 s21, s24, s25
	s_cselect_b32 s30, s20, s22
	s_wait_kmcnt 0x0
	v_mad_u32 v4, s21, s3, v1
	s_mov_b32 s3, 0
	s_cselect_b32 s2, ttmp9, s2
	s_mov_b32 s31, s3
	s_mov_b32 s21, s3
	s_lshl_b32 s20, s2, 10
	v_mov_b32_e32 v3, 0
	s_lshl_b64 s[20:21], s[20:21], 2
	v_lshlrev_b32_e32 v2, 2, v12
	s_mul_u64 s[28:29], s[18:19], s[30:31]
	s_load_b512 s[36:51], s[0:1], 0x40
	v_lshlrev_b32_e32 v0, 5, v4
	s_lshl_b64 s[22:23], s[28:29], 12
	s_delay_alu instid0(SALU_CYCLE_1) | instskip(NEXT) | instid1(VALU_DEP_1)
	s_add_nc_u64 s[14:15], s[14:15], s[22:23]
	v_ashrrev_i32_e32 v1, 31, v0
	s_add_nc_u64 s[14:15], s[14:15], s[20:21]
	s_delay_alu instid0(VALU_DEP_1) | instid1(SALU_CYCLE_1)
	v_lshl_add_u64 v[6:7], v[0:1], 2, s[14:15]
	s_delay_alu instid0(VALU_DEP_1)
	v_add_nc_u64_e32 v[6:7], v[6:7], v[2:3]
	s_wait_kmcnt 0x0
	v_cmp_lt_i64_e64 s14, s[36:37], 1
	global_load_b32 v1, v[6:7], off
	s_and_b32 vcc_lo, exec_lo, s14
	s_cbranch_vccnz .LBB5_5
; %bb.1:
	s_wait_xcnt 0x0
	v_mbcnt_lo_u32_b32 v6, -1, 0
	s_clause 0x4
	s_load_b128 s[24:27], s[0:1], 0x98
	s_load_b128 s[20:23], s[0:1], 0x80
	s_load_b64 s[14:15], s[0:1], 0x90
	s_load_b32 s54, s[0:1], 0xa8
	s_load_b32 s33, s[0:1], 0xb0
	s_wait_xcnt 0x0
	s_mul_u64 s[0:1], s[28:29], s[36:37]
	s_mul_u64 s[50:51], s[50:51], s[30:31]
	s_mov_b32 s53, s3
	v_xor_b32_e32 v7, 8, v6
	v_xor_b32_e32 v5, 16, v6
	s_add_nc_u64 s[0:1], s[0:1], s[2:3]
	s_lshl_b64 s[50:51], s[50:51], 2
	s_lshl_b64 s[58:59], s[0:1], 7
	s_add_nc_u64 s[0:1], s[8:9], s[50:51]
	v_cmp_gt_i32_e32 vcc_lo, 32, v5
	s_mov_b32 s35, s3
	s_mov_b32 s55, s3
	;; [unrolled: 1-line block ×3, first 2 shown]
	v_dual_cndmask_b32 v5, v6, v5, vcc_lo :: v_dual_bitop2_b32 v8, 2, v6 bitop3:0x14
	s_wait_kmcnt 0x0
	s_mov_b32 s52, s24
	s_mov_b32 s34, s27
	s_mul_u64 s[8:9], s[52:53], s[2:3]
	s_mul_u64 s[14:15], s[14:15], s[30:31]
	v_dual_lshlrev_b32 v13, 2, v5 :: v_dual_bitop2_b32 v5, 4, v6 bitop3:0x14
	v_cmp_gt_i32_e32 vcc_lo, 32, v7
	s_add_co_i32 s24, s2, s9
	s_mul_u64 s[8:9], s[34:35], s[30:31]
	s_lshr_b32 s8, s24, s25
	s_add_co_i32 s9, s30, s9
	v_cndmask_b32_e32 v7, v6, v7, vcc_lo
	v_cmp_gt_i32_e32 vcc_lo, 32, v5
	v_xor_b32_e32 v9, 1, v6
	s_mul_i32 s8, s8, s26
	s_lshr_b32 s54, s9, s54
	s_sub_co_i32 s56, s2, s8
	v_cndmask_b32_e32 v10, v6, v5, vcc_lo
	v_cmp_gt_i32_e32 vcc_lo, 32, v8
	s_mul_u64 s[20:21], s[20:21], s[2:3]
	s_mul_u64 s[8:9], s[44:45], s[54:55]
	;; [unrolled: 1-line block ×3, first 2 shown]
	v_dual_lshlrev_b32 v14, 2, v7 :: v_dual_lshlrev_b32 v15, 2, v10
	v_cndmask_b32_e32 v8, v6, v8, vcc_lo
	v_cmp_gt_i32_e32 vcc_lo, 32, v9
	v_ashrrev_i32_e32 v5, 31, v4
	s_mul_u64 s[46:47], s[46:47], s[2:3]
	s_lshl_b64 s[8:9], s[8:9], 2
	s_lshl_b64 s[24:25], s[24:25], 2
	v_cndmask_b32_e32 v6, v6, v9, vcc_lo
	v_lshlrev_b64_e32 v[10:11], 2, v[4:5]
	s_add_nc_u64 s[20:21], s[14:15], s[20:21]
	s_lshl_b64 s[46:47], s[46:47], 2
	s_add_nc_u64 s[8:9], s[8:9], s[24:25]
	s_lshl_b64 s[24:25], s[20:21], 7
	s_add_nc_u64 s[0:1], s[0:1], s[46:47]
	s_add_nc_u64 s[10:11], s[10:11], s[24:25]
	;; [unrolled: 1-line block ×3, first 2 shown]
	v_dual_lshlrev_b32 v16, 2, v8 :: v_dual_lshlrev_b32 v17, 2, v6
	v_add_nc_u64_e32 v[4:5], s[0:1], v[10:11]
	v_add_nc_u64_e32 v[6:7], s[8:9], v[2:3]
	;; [unrolled: 1-line block ×4, first 2 shown]
	v_cmp_eq_u32_e64 s0, 0, v12
	s_lshl_b64 s[20:21], s[20:21], 2
	s_lshl_b64 s[8:9], s[42:43], 2
	;; [unrolled: 1-line block ×3, first 2 shown]
	s_add_nc_u64 s[10:11], s[12:13], s[20:21]
	s_lshl_b64 s[12:13], s[22:23], 2
	s_lshl_b64 s[20:21], s[22:23], 7
	;; [unrolled: 1-line block ×3, first 2 shown]
	s_mov_b64 s[24:25], 0
	s_branch .LBB5_3
.LBB5_2:                                ;   in Loop: Header=BB5_3 Depth=1
	s_wait_xcnt 0x0
	s_or_b32 exec_lo, exec_lo, s1
	s_add_nc_u64 s[24:25], s[24:25], 1
	v_add_nc_u64_e32 v[6:7], s[8:9], v[6:7]
	v_cmp_le_i64_e64 s1, s[36:37], s[24:25]
	v_add_nc_u64_e32 v[4:5], s[14:15], v[4:5]
	v_add_nc_u64_e32 v[8:9], s[20:21], v[8:9]
	;; [unrolled: 1-line block ×3, first 2 shown]
	s_add_nc_u64 s[10:11], s[10:11], s[12:13]
	s_and_b32 vcc_lo, exec_lo, s1
	s_cbranch_vccnz .LBB5_5
.LBB5_3:                                ; =>This Inner Loop Header: Depth=1
	global_load_b32 v2, v[8:9], off
	s_wait_dscnt 0x0
	v_add_nc_u64_e32 v[18:19], s[6:7], v[6:7]
	global_load_b32 v20, v[18:19], off
	global_load_b32 v21, v[4:5], off
	global_load_b32 v22, v3, s[10:11]
	s_wait_xcnt 0x2
	v_add_nc_u64_e32 v[18:19], s[4:5], v[6:7]
	global_load_b32 v18, v[18:19], off
	s_wait_loadcnt 0x4
	s_wait_xcnt 0x0
	v_mul_f32_e32 v19, 0x3fb8aa3b, v2
	v_cmp_ngt_f32_e32 vcc_lo, 0xc2ce8ed0, v2
	s_delay_alu instid0(VALU_DEP_2) | instskip(SKIP_1) | instid1(VALU_DEP_1)
	v_rndne_f32_e32 v23, v19
	v_fma_f32 v24, 0x3fb8aa3b, v2, -v19
	v_dual_sub_f32 v19, v19, v23 :: v_dual_fmac_f32 v24, 0x32a5705f, v2
	v_cvt_i32_f32_e32 v23, v23
	s_delay_alu instid0(VALU_DEP_2) | instskip(NEXT) | instid1(VALU_DEP_1)
	v_add_f32_e32 v19, v19, v24
	v_exp_f32_e32 v19, v19
	v_nop
	s_delay_alu instid0(TRANS32_DEP_1) | instskip(NEXT) | instid1(VALU_DEP_1)
	v_ldexp_f32 v19, v19, v23
	v_cndmask_b32_e32 v19, 0, v19, vcc_lo
	v_cmp_nlt_f32_e32 vcc_lo, 0x42b17218, v2
	s_delay_alu instid0(VALU_DEP_2) | instskip(NEXT) | instid1(VALU_DEP_1)
	v_cndmask_b32_e32 v2, 0x7f800000, v19, vcc_lo
	v_mul_f32_e32 v1, v1, v2
	s_wait_loadcnt 0x3
	s_delay_alu instid0(VALU_DEP_1)
	v_fma_f32 v2, v20, v1, 0
	ds_bpermute_b32 v19, v13, v2
	s_wait_dscnt 0x0
	v_add_f32_e32 v2, v2, v19
	ds_bpermute_b32 v19, v14, v2
	s_wait_dscnt 0x0
	v_add_f32_e32 v2, v2, v19
	;; [unrolled: 3-line block ×5, first 2 shown]
	s_wait_loadcnt 0x2
	s_delay_alu instid0(VALU_DEP_1) | instskip(SKIP_1) | instid1(VALU_DEP_1)
	v_sub_f32_e32 v2, v21, v2
	s_wait_loadcnt 0x1
	v_mul_f32_e32 v2, v22, v2
	s_delay_alu instid0(VALU_DEP_1) | instskip(SKIP_1) | instid1(VALU_DEP_1)
	v_fmac_f32_e32 v1, v20, v2
	s_wait_loadcnt 0x0
	v_fma_f32 v2, v18, v1, 0
	ds_bpermute_b32 v18, v13, v2
	s_wait_dscnt 0x0
	v_add_f32_e32 v2, v2, v18
	ds_bpermute_b32 v18, v14, v2
	s_wait_dscnt 0x0
	v_add_f32_e32 v2, v2, v18
	;; [unrolled: 3-line block ×4, first 2 shown]
	ds_bpermute_b32 v18, v17, v2
	s_and_saveexec_b32 s1, s0
	s_cbranch_execz .LBB5_2
; %bb.4:                                ;   in Loop: Header=BB5_3 Depth=1
	s_wait_dscnt 0x0
	v_add_f32_e32 v2, v2, v18
	s_delay_alu instid0(VALU_DEP_1)
	v_mul_f32_e32 v2, s33, v2
	global_store_b32 v[10:11], v2, off
	s_branch .LBB5_2
.LBB5_5:
	s_mul_u64 s[0:1], s[18:19], s[36:37]
	s_add_nc_u64 s[2:3], s[28:29], s[2:3]
	s_mul_u64 s[0:1], s[0:1], s[38:39]
	v_add_nc_u32_e32 v0, v0, v12
	s_lshl_b64 s[0:1], s[0:1], 7
	s_lshl_b64 s[2:3], s[2:3], 12
	s_add_nc_u64 s[0:1], s[16:17], s[0:1]
	s_delay_alu instid0(SALU_CYCLE_1)
	s_add_nc_u64 s[0:1], s[0:1], s[2:3]
	s_wait_loadcnt 0x0
	global_store_b32 v0, v1, s[0:1] scale_offset
	s_endpgm
	.section	.rodata,"a",@progbits
	.p2align	6, 0x0
	.amdhsa_kernel _Z20gated_delta_net_cudaILi32ELb1ELb0EEvPKfS1_S1_S1_S1_S1_Pfllllllllllll15HIP_vector_typeIjLj3EES4_fi
		.amdhsa_group_segment_fixed_size 0
		.amdhsa_private_segment_fixed_size 0
		.amdhsa_kernarg_size 440
		.amdhsa_user_sgpr_count 2
		.amdhsa_user_sgpr_dispatch_ptr 0
		.amdhsa_user_sgpr_queue_ptr 0
		.amdhsa_user_sgpr_kernarg_segment_ptr 1
		.amdhsa_user_sgpr_dispatch_id 0
		.amdhsa_user_sgpr_kernarg_preload_length 0
		.amdhsa_user_sgpr_kernarg_preload_offset 0
		.amdhsa_user_sgpr_private_segment_size 0
		.amdhsa_wavefront_size32 1
		.amdhsa_uses_dynamic_stack 0
		.amdhsa_enable_private_segment 0
		.amdhsa_system_sgpr_workgroup_id_x 1
		.amdhsa_system_sgpr_workgroup_id_y 1
		.amdhsa_system_sgpr_workgroup_id_z 1
		.amdhsa_system_sgpr_workgroup_info 0
		.amdhsa_system_vgpr_workitem_id 1
		.amdhsa_next_free_vgpr 25
		.amdhsa_next_free_sgpr 60
		.amdhsa_named_barrier_count 0
		.amdhsa_reserve_vcc 1
		.amdhsa_float_round_mode_32 0
		.amdhsa_float_round_mode_16_64 0
		.amdhsa_float_denorm_mode_32 3
		.amdhsa_float_denorm_mode_16_64 3
		.amdhsa_fp16_overflow 0
		.amdhsa_memory_ordered 1
		.amdhsa_forward_progress 1
		.amdhsa_inst_pref_size 10
		.amdhsa_round_robin_scheduling 0
		.amdhsa_exception_fp_ieee_invalid_op 0
		.amdhsa_exception_fp_denorm_src 0
		.amdhsa_exception_fp_ieee_div_zero 0
		.amdhsa_exception_fp_ieee_overflow 0
		.amdhsa_exception_fp_ieee_underflow 0
		.amdhsa_exception_fp_ieee_inexact 0
		.amdhsa_exception_int_div_zero 0
	.end_amdhsa_kernel
	.section	.text._Z20gated_delta_net_cudaILi32ELb1ELb0EEvPKfS1_S1_S1_S1_S1_Pfllllllllllll15HIP_vector_typeIjLj3EES4_fi,"axG",@progbits,_Z20gated_delta_net_cudaILi32ELb1ELb0EEvPKfS1_S1_S1_S1_S1_Pfllllllllllll15HIP_vector_typeIjLj3EES4_fi,comdat
.Lfunc_end5:
	.size	_Z20gated_delta_net_cudaILi32ELb1ELb0EEvPKfS1_S1_S1_S1_S1_Pfllllllllllll15HIP_vector_typeIjLj3EES4_fi, .Lfunc_end5-_Z20gated_delta_net_cudaILi32ELb1ELb0EEvPKfS1_S1_S1_S1_S1_Pfllllllllllll15HIP_vector_typeIjLj3EES4_fi
                                        ; -- End function
	.set _Z20gated_delta_net_cudaILi32ELb1ELb0EEvPKfS1_S1_S1_S1_S1_Pfllllllllllll15HIP_vector_typeIjLj3EES4_fi.num_vgpr, 25
	.set _Z20gated_delta_net_cudaILi32ELb1ELb0EEvPKfS1_S1_S1_S1_S1_Pfllllllllllll15HIP_vector_typeIjLj3EES4_fi.num_agpr, 0
	.set _Z20gated_delta_net_cudaILi32ELb1ELb0EEvPKfS1_S1_S1_S1_S1_Pfllllllllllll15HIP_vector_typeIjLj3EES4_fi.numbered_sgpr, 60
	.set _Z20gated_delta_net_cudaILi32ELb1ELb0EEvPKfS1_S1_S1_S1_S1_Pfllllllllllll15HIP_vector_typeIjLj3EES4_fi.num_named_barrier, 0
	.set _Z20gated_delta_net_cudaILi32ELb1ELb0EEvPKfS1_S1_S1_S1_S1_Pfllllllllllll15HIP_vector_typeIjLj3EES4_fi.private_seg_size, 0
	.set _Z20gated_delta_net_cudaILi32ELb1ELb0EEvPKfS1_S1_S1_S1_S1_Pfllllllllllll15HIP_vector_typeIjLj3EES4_fi.uses_vcc, 1
	.set _Z20gated_delta_net_cudaILi32ELb1ELb0EEvPKfS1_S1_S1_S1_S1_Pfllllllllllll15HIP_vector_typeIjLj3EES4_fi.uses_flat_scratch, 0
	.set _Z20gated_delta_net_cudaILi32ELb1ELb0EEvPKfS1_S1_S1_S1_S1_Pfllllllllllll15HIP_vector_typeIjLj3EES4_fi.has_dyn_sized_stack, 0
	.set _Z20gated_delta_net_cudaILi32ELb1ELb0EEvPKfS1_S1_S1_S1_S1_Pfllllllllllll15HIP_vector_typeIjLj3EES4_fi.has_recursion, 0
	.set _Z20gated_delta_net_cudaILi32ELb1ELb0EEvPKfS1_S1_S1_S1_S1_Pfllllllllllll15HIP_vector_typeIjLj3EES4_fi.has_indirect_call, 0
	.section	.AMDGPU.csdata,"",@progbits
; Kernel info:
; codeLenInByte = 1180
; TotalNumSgprs: 62
; NumVgprs: 25
; ScratchSize: 0
; MemoryBound: 0
; FloatMode: 240
; IeeeMode: 1
; LDSByteSize: 0 bytes/workgroup (compile time only)
; SGPRBlocks: 0
; VGPRBlocks: 1
; NumSGPRsForWavesPerEU: 62
; NumVGPRsForWavesPerEU: 25
; NamedBarCnt: 0
; Occupancy: 16
; WaveLimiterHint : 0
; COMPUTE_PGM_RSRC2:SCRATCH_EN: 0
; COMPUTE_PGM_RSRC2:USER_SGPR: 2
; COMPUTE_PGM_RSRC2:TRAP_HANDLER: 0
; COMPUTE_PGM_RSRC2:TGID_X_EN: 1
; COMPUTE_PGM_RSRC2:TGID_Y_EN: 1
; COMPUTE_PGM_RSRC2:TGID_Z_EN: 1
; COMPUTE_PGM_RSRC2:TIDIG_COMP_CNT: 1
	.section	.text._Z20gated_delta_net_cudaILi64ELb1ELb0EEvPKfS1_S1_S1_S1_S1_Pfllllllllllll15HIP_vector_typeIjLj3EES4_fi,"axG",@progbits,_Z20gated_delta_net_cudaILi64ELb1ELb0EEvPKfS1_S1_S1_S1_S1_Pfllllllllllll15HIP_vector_typeIjLj3EES4_fi,comdat
	.protected	_Z20gated_delta_net_cudaILi64ELb1ELb0EEvPKfS1_S1_S1_S1_S1_Pfllllllllllll15HIP_vector_typeIjLj3EES4_fi ; -- Begin function _Z20gated_delta_net_cudaILi64ELb1ELb0EEvPKfS1_S1_S1_S1_S1_Pfllllllllllll15HIP_vector_typeIjLj3EES4_fi
	.globl	_Z20gated_delta_net_cudaILi64ELb1ELb0EEvPKfS1_S1_S1_S1_S1_Pfllllllllllll15HIP_vector_typeIjLj3EES4_fi
	.p2align	8
	.type	_Z20gated_delta_net_cudaILi64ELb1ELb0EEvPKfS1_S1_S1_S1_S1_Pfllllllllllll15HIP_vector_typeIjLj3EES4_fi,@function
_Z20gated_delta_net_cudaILi64ELb1ELb0EEvPKfS1_S1_S1_S1_S1_Pfllllllllllll15HIP_vector_typeIjLj3EES4_fi: ; @_Z20gated_delta_net_cudaILi64ELb1ELb0EEvPKfS1_S1_S1_S1_S1_Pfllllllllllll15HIP_vector_typeIjLj3EES4_fi
; %bb.0:
	s_load_u16 s3, s[0:1], 0xc6
	s_bfe_u32 s2, ttmp6, 0x40010
	s_and_b32 s20, ttmp7, 0xffff
	s_add_co_i32 s2, s2, 1
	s_bfe_u32 s21, ttmp6, 0x40004
	s_mul_i32 s2, s20, s2
	s_bfe_u32 s23, ttmp6, 0x40014
	s_add_co_i32 s22, s21, s2
	s_bfe_u32 s2, ttmp6, 0x4000c
	s_lshr_b32 s24, ttmp7, 16
	s_add_co_i32 s2, s2, 1
	s_add_co_i32 s23, s23, 1
	s_and_b32 s21, ttmp6, 15
	s_mul_i32 s2, ttmp9, s2
	s_load_b512 s[4:19], s[0:1], 0x0
	s_mul_i32 s23, s24, s23
	s_bfe_u32 s25, ttmp6, 0x40008
	s_add_co_i32 s2, s21, s2
	s_getreg_b32 s21, hwreg(HW_REG_IB_STS2, 6, 4)
	s_add_co_i32 s25, s25, s23
	v_bfe_u32 v1, v0, 10, 10
	s_cmp_eq_u32 s21, 0
	v_and_b32_e32 v14, 0x3ff, v0
	s_cselect_b32 s21, s24, s25
	s_cselect_b32 s30, s20, s22
	s_wait_kmcnt 0x0
	v_mad_u32 v6, s21, s3, v1
	s_mov_b32 s3, 0
	s_cselect_b32 s2, ttmp9, s2
	s_mov_b32 s31, s3
	s_mov_b32 s21, s3
	s_lshl_b32 s20, s2, 12
	v_mov_b32_e32 v5, 0
	s_lshl_b64 s[20:21], s[20:21], 2
	s_load_b512 s[36:51], s[0:1], 0x40
	s_mul_u64 s[28:29], s[18:19], s[30:31]
	v_lshlrev_b32_e32 v4, 2, v14
	v_lshlrev_b32_e32 v0, 6, v6
	s_lshl_b64 s[22:23], s[28:29], 14
	s_delay_alu instid0(SALU_CYCLE_1) | instskip(NEXT) | instid1(VALU_DEP_1)
	s_add_nc_u64 s[14:15], s[14:15], s[22:23]
	v_ashrrev_i32_e32 v1, 31, v0
	s_add_nc_u64 s[14:15], s[14:15], s[20:21]
	s_delay_alu instid0(VALU_DEP_1) | instid1(SALU_CYCLE_1)
	v_lshl_add_u64 v[2:3], v[0:1], 2, s[14:15]
	s_delay_alu instid0(VALU_DEP_1)
	v_add_nc_u64_e32 v[8:9], v[2:3], v[4:5]
	s_clause 0x1
	global_load_b32 v2, v[8:9], off
	global_load_b32 v3, v[8:9], off offset:128
	s_wait_kmcnt 0x0
	v_cmp_lt_i64_e64 s14, s[36:37], 1
	s_and_b32 vcc_lo, exec_lo, s14
	s_cbranch_vccnz .LBB6_5
; %bb.1:
	v_mbcnt_lo_u32_b32 v7, -1, 0
	s_clause 0x4
	s_load_b128 s[24:27], s[0:1], 0x98
	s_load_b128 s[20:23], s[0:1], 0x80
	s_load_b64 s[14:15], s[0:1], 0x90
	s_load_b32 s54, s[0:1], 0xa8
	s_load_b32 s33, s[0:1], 0xb0
	s_mul_u64 s[50:51], s[50:51], s[30:31]
	s_mov_b32 s53, s3
	s_lshl_b64 s[50:51], s[50:51], 2
	v_xor_b32_e32 v8, 8, v7
	v_xor_b32_e32 v1, 16, v7
	s_add_nc_u64 s[8:9], s[8:9], s[50:51]
	s_mov_b32 s35, s3
	s_mov_b32 s55, s3
	;; [unrolled: 1-line block ×3, first 2 shown]
	v_cmp_gt_i32_e32 vcc_lo, 32, v1
	s_wait_xcnt 0x0
	s_mul_u64 s[0:1], s[28:29], s[36:37]
	s_mul_u64 s[46:47], s[46:47], s[2:3]
	s_add_nc_u64 s[0:1], s[0:1], s[2:3]
	v_dual_cndmask_b32 v1, v7, v1, vcc_lo :: v_dual_bitop2_b32 v9, 4, v7 bitop3:0x14
	s_wait_kmcnt 0x0
	s_mov_b32 s52, s24
	s_mov_b32 s34, s27
	s_mul_u64 s[50:51], s[52:53], s[2:3]
	s_mul_u64 s[34:35], s[34:35], s[30:31]
	v_lshlrev_b32_e32 v1, 2, v1
	v_cmp_gt_i32_e32 vcc_lo, 32, v8
	s_add_co_i32 s24, s2, s51
	s_mul_u64 s[14:15], s[14:15], s[30:31]
	s_lshr_b32 s24, s24, s25
	s_add_co_i32 s25, s30, s35
	v_cndmask_b32_e32 v8, v7, v8, vcc_lo
	v_cmp_gt_i32_e32 vcc_lo, 32, v9
	v_xor_b32_e32 v10, 2, v7
	s_mul_i32 s24, s24, s26
	s_lshr_b32 s54, s25, s54
	s_sub_co_i32 s56, s2, s24
	v_cndmask_b32_e32 v9, v7, v9, vcc_lo
	v_cmp_gt_i32_e32 vcc_lo, 32, v10
	v_xor_b32_e32 v11, 1, v7
	s_mul_u64 s[20:21], s[20:21], s[2:3]
	s_mul_u64 s[24:25], s[44:45], s[54:55]
	;; [unrolled: 1-line block ×3, first 2 shown]
	v_cndmask_b32_e32 v10, v7, v10, vcc_lo
	v_cmp_gt_i32_e32 vcc_lo, 32, v11
	s_lshl_b64 s[24:25], s[24:25], 2
	s_lshl_b64 s[26:27], s[26:27], 2
	s_add_nc_u64 s[20:21], s[14:15], s[20:21]
	s_add_nc_u64 s[14:15], s[24:25], s[26:27]
	v_dual_cndmask_b32 v11, v7, v11, vcc_lo :: v_dual_ashrrev_i32 v7, 31, v6
	s_lshl_b64 s[24:25], s[20:21], 8
	v_dual_lshlrev_b32 v15, 2, v8 :: v_dual_lshlrev_b32 v16, 2, v9
	s_add_nc_u64 s[10:11], s[10:11], s[24:25]
	s_delay_alu instid0(VALU_DEP_2)
	v_lshlrev_b64_e32 v[8:9], 2, v[6:7]
	v_dual_lshlrev_b32 v17, 2, v10 :: v_dual_lshlrev_b32 v18, 2, v11
	v_add_nc_u64_e32 v[10:11], s[14:15], v[4:5]
	v_add_nc_u64_e32 v[12:13], s[10:11], v[4:5]
	s_lshl_b64 s[46:47], s[46:47], 2
	s_lshl_b64 s[0:1], s[0:1], 8
	s_add_nc_u64 s[8:9], s[8:9], s[46:47]
	s_lshl_b64 s[24:25], s[20:21], 2
	v_add_nc_u64_e32 v[6:7], s[8:9], v[8:9]
	s_add_nc_u64 s[8:9], s[16:17], s[0:1]
	v_add_nc_u64_e32 v[10:11], 0x80, v[10:11]
	v_add_nc_u64_e32 v[8:9], s[8:9], v[8:9]
	;; [unrolled: 1-line block ×3, first 2 shown]
	v_cmp_eq_u32_e64 s0, 0, v14
	s_lshl_b64 s[8:9], s[18:19], 8
	s_lshl_b64 s[10:11], s[42:43], 2
	;; [unrolled: 1-line block ×4, first 2 shown]
	s_add_nc_u64 s[12:13], s[12:13], s[24:25]
	s_lshl_b64 s[22:23], s[22:23], 2
	s_mov_b64 s[24:25], 0
	s_branch .LBB6_3
.LBB6_2:                                ;   in Loop: Header=BB6_3 Depth=1
	s_wait_xcnt 0x0
	s_or_b32 exec_lo, exec_lo, s1
	s_add_nc_u64 s[24:25], s[24:25], 1
	v_add_nc_u64_e32 v[8:9], s[8:9], v[8:9]
	v_cmp_le_i64_e64 s1, s[36:37], s[24:25]
	v_add_nc_u64_e32 v[10:11], s[10:11], v[10:11]
	v_add_nc_u64_e32 v[12:13], s[14:15], v[12:13]
	;; [unrolled: 1-line block ×3, first 2 shown]
	s_add_nc_u64 s[12:13], s[12:13], s[22:23]
	s_and_b32 vcc_lo, exec_lo, s1
	s_cbranch_vccnz .LBB6_5
.LBB6_3:                                ; =>This Inner Loop Header: Depth=1
	global_load_b32 v4, v[12:13], off offset:-128
	s_wait_dscnt 0x0
	global_load_b32 v19, v[12:13], off
	v_add_nc_u64_e32 v[20:21], s[6:7], v[10:11]
	s_clause 0x1
	global_load_b32 v22, v[20:21], off offset:-128
	global_load_b32 v23, v[20:21], off
	global_load_b32 v28, v[6:7], off
	global_load_b32 v29, v5, s[12:13]
	s_wait_xcnt 0x2
	v_add_nc_u64_e32 v[20:21], s[4:5], v[10:11]
	s_clause 0x1
	global_load_b32 v30, v[20:21], off offset:-128
	global_load_b32 v31, v[20:21], off
	s_wait_loadcnt 0x6
	s_wait_xcnt 0x0
	v_dual_mul_f32 v20, 0x3fb8aa3b, v4 :: v_dual_mul_f32 v21, 0x3fb8aa3b, v19
	v_cmp_ngt_f32_e32 vcc_lo, 0xc2ce8ed0, v4
	s_delay_alu instid0(VALU_DEP_2) | instskip(SKIP_1) | instid1(VALU_DEP_4)
	v_rndne_f32_e32 v24, v20
	v_fma_f32 v25, 0x3fb8aa3b, v4, -v20
	v_rndne_f32_e32 v26, v21
	v_fma_f32 v27, 0x3fb8aa3b, v19, -v21
	s_delay_alu instid0(VALU_DEP_4) | instskip(NEXT) | instid1(VALU_DEP_4)
	v_sub_f32_e32 v20, v20, v24
	v_fmac_f32_e32 v25, 0x32a5705f, v4
	s_delay_alu instid0(VALU_DEP_4) | instskip(NEXT) | instid1(VALU_DEP_4)
	v_sub_f32_e32 v21, v21, v26
	v_fmac_f32_e32 v27, 0x32a5705f, v19
	v_cvt_i32_f32_e32 v24, v24
	s_delay_alu instid0(VALU_DEP_4) | instskip(SKIP_1) | instid1(VALU_DEP_2)
	v_add_f32_e32 v20, v20, v25
	v_cvt_i32_f32_e32 v25, v26
	v_exp_f32_e32 v20, v20
	v_nop
	s_delay_alu instid0(TRANS32_DEP_1) | instskip(NEXT) | instid1(VALU_DEP_1)
	v_ldexp_f32 v20, v20, v24
	v_dual_add_f32 v21, v21, v27 :: v_dual_cndmask_b32 v20, 0, v20
	s_delay_alu instid0(VALU_DEP_1) | instskip(SKIP_1) | instid1(TRANS32_DEP_1)
	v_exp_f32_e32 v21, v21
	v_cmp_ngt_f32_e32 vcc_lo, 0xc2ce8ed0, v19
	v_ldexp_f32 v21, v21, v25
	s_delay_alu instid0(VALU_DEP_1) | instskip(SKIP_3) | instid1(VALU_DEP_4)
	v_cndmask_b32_e32 v21, 0, v21, vcc_lo
	v_cmp_nlt_f32_e32 vcc_lo, 0x42b17218, v4
	v_cndmask_b32_e32 v20, 0x7f800000, v20, vcc_lo
	v_cmp_nlt_f32_e32 vcc_lo, 0x42b17218, v19
	v_cndmask_b32_e32 v21, 0x7f800000, v21, vcc_lo
	s_delay_alu instid0(VALU_DEP_1) | instskip(SKIP_2) | instid1(VALU_DEP_2)
	v_pk_mul_f32 v[24:25], v[2:3], v[20:21]
	s_wait_loadcnt 0x4
	v_mov_b32_e32 v20, v23
	v_pk_mul_f32 v[26:27], v[22:23], v[24:25]
	s_delay_alu instid0(VALU_DEP_1) | instskip(NEXT) | instid1(VALU_DEP_1)
	v_add_f32_e32 v2, 0, v26
	v_add_f32_e32 v2, v2, v27
	ds_bpermute_b32 v4, v1, v2
	s_wait_dscnt 0x0
	v_add_f32_e32 v2, v2, v4
	ds_bpermute_b32 v4, v15, v2
	s_wait_dscnt 0x0
	;; [unrolled: 3-line block ×5, first 2 shown]
	v_add_f32_e32 v2, v2, v4
	s_wait_loadcnt 0x3
	s_delay_alu instid0(VALU_DEP_1) | instskip(SKIP_1) | instid1(VALU_DEP_1)
	v_sub_f32_e32 v2, v28, v2
	s_wait_loadcnt 0x2
	v_mul_f32_e32 v2, v29, v2
	s_delay_alu instid0(VALU_DEP_1) | instskip(NEXT) | instid1(VALU_DEP_1)
	v_pk_mul_f32 v[20:21], v[2:3], v[20:21]
	v_dual_mul_f32 v2, v2, v22 :: v_dual_mov_b32 v3, v20
	s_delay_alu instid0(VALU_DEP_2) | instskip(NEXT) | instid1(VALU_DEP_1)
	v_mov_b32_e32 v25, v21
	v_pk_add_f32 v[2:3], v[2:3], v[24:25]
	s_wait_loadcnt 0x1
	s_delay_alu instid0(VALU_DEP_1) | instskip(SKIP_1) | instid1(VALU_DEP_1)
	v_fma_f32 v4, v30, v2, 0
	s_wait_loadcnt 0x0
	v_fmac_f32_e32 v4, v31, v3
	ds_bpermute_b32 v19, v1, v4
	s_wait_dscnt 0x0
	v_add_f32_e32 v4, v4, v19
	ds_bpermute_b32 v19, v15, v4
	s_wait_dscnt 0x0
	v_add_f32_e32 v4, v4, v19
	;; [unrolled: 3-line block ×4, first 2 shown]
	ds_bpermute_b32 v19, v18, v4
	s_and_saveexec_b32 s1, s0
	s_cbranch_execz .LBB6_2
; %bb.4:                                ;   in Loop: Header=BB6_3 Depth=1
	s_wait_dscnt 0x0
	v_add_f32_e32 v4, v4, v19
	s_delay_alu instid0(VALU_DEP_1)
	v_mul_f32_e32 v4, s33, v4
	global_store_b32 v[8:9], v4, off
	s_branch .LBB6_2
.LBB6_5:
	s_mul_u64 s[0:1], s[18:19], s[36:37]
	s_add_nc_u64 s[2:3], s[28:29], s[2:3]
	s_mul_u64 s[0:1], s[0:1], s[38:39]
	v_add_nc_u32_e32 v0, v0, v14
	s_lshl_b64 s[0:1], s[0:1], 8
	s_lshl_b64 s[2:3], s[2:3], 14
	s_add_nc_u64 s[0:1], s[16:17], s[0:1]
	s_delay_alu instid0(SALU_CYCLE_1)
	s_add_nc_u64 s[0:1], s[0:1], s[2:3]
	s_wait_loadcnt 0x1
	global_store_b32 v0, v2, s[0:1] scale_offset
	s_wait_loadcnt 0x0
	global_store_b32 v0, v3, s[0:1] offset:128 scale_offset
	s_endpgm
	.section	.rodata,"a",@progbits
	.p2align	6, 0x0
	.amdhsa_kernel _Z20gated_delta_net_cudaILi64ELb1ELb0EEvPKfS1_S1_S1_S1_S1_Pfllllllllllll15HIP_vector_typeIjLj3EES4_fi
		.amdhsa_group_segment_fixed_size 0
		.amdhsa_private_segment_fixed_size 0
		.amdhsa_kernarg_size 440
		.amdhsa_user_sgpr_count 2
		.amdhsa_user_sgpr_dispatch_ptr 0
		.amdhsa_user_sgpr_queue_ptr 0
		.amdhsa_user_sgpr_kernarg_segment_ptr 1
		.amdhsa_user_sgpr_dispatch_id 0
		.amdhsa_user_sgpr_kernarg_preload_length 0
		.amdhsa_user_sgpr_kernarg_preload_offset 0
		.amdhsa_user_sgpr_private_segment_size 0
		.amdhsa_wavefront_size32 1
		.amdhsa_uses_dynamic_stack 0
		.amdhsa_enable_private_segment 0
		.amdhsa_system_sgpr_workgroup_id_x 1
		.amdhsa_system_sgpr_workgroup_id_y 1
		.amdhsa_system_sgpr_workgroup_id_z 1
		.amdhsa_system_sgpr_workgroup_info 0
		.amdhsa_system_vgpr_workitem_id 1
		.amdhsa_next_free_vgpr 32
		.amdhsa_next_free_sgpr 58
		.amdhsa_named_barrier_count 0
		.amdhsa_reserve_vcc 1
		.amdhsa_float_round_mode_32 0
		.amdhsa_float_round_mode_16_64 0
		.amdhsa_float_denorm_mode_32 3
		.amdhsa_float_denorm_mode_16_64 3
		.amdhsa_fp16_overflow 0
		.amdhsa_memory_ordered 1
		.amdhsa_forward_progress 1
		.amdhsa_inst_pref_size 12
		.amdhsa_round_robin_scheduling 0
		.amdhsa_exception_fp_ieee_invalid_op 0
		.amdhsa_exception_fp_denorm_src 0
		.amdhsa_exception_fp_ieee_div_zero 0
		.amdhsa_exception_fp_ieee_overflow 0
		.amdhsa_exception_fp_ieee_underflow 0
		.amdhsa_exception_fp_ieee_inexact 0
		.amdhsa_exception_int_div_zero 0
	.end_amdhsa_kernel
	.section	.text._Z20gated_delta_net_cudaILi64ELb1ELb0EEvPKfS1_S1_S1_S1_S1_Pfllllllllllll15HIP_vector_typeIjLj3EES4_fi,"axG",@progbits,_Z20gated_delta_net_cudaILi64ELb1ELb0EEvPKfS1_S1_S1_S1_S1_Pfllllllllllll15HIP_vector_typeIjLj3EES4_fi,comdat
.Lfunc_end6:
	.size	_Z20gated_delta_net_cudaILi64ELb1ELb0EEvPKfS1_S1_S1_S1_S1_Pfllllllllllll15HIP_vector_typeIjLj3EES4_fi, .Lfunc_end6-_Z20gated_delta_net_cudaILi64ELb1ELb0EEvPKfS1_S1_S1_S1_S1_Pfllllllllllll15HIP_vector_typeIjLj3EES4_fi
                                        ; -- End function
	.set _Z20gated_delta_net_cudaILi64ELb1ELb0EEvPKfS1_S1_S1_S1_S1_Pfllllllllllll15HIP_vector_typeIjLj3EES4_fi.num_vgpr, 32
	.set _Z20gated_delta_net_cudaILi64ELb1ELb0EEvPKfS1_S1_S1_S1_S1_Pfllllllllllll15HIP_vector_typeIjLj3EES4_fi.num_agpr, 0
	.set _Z20gated_delta_net_cudaILi64ELb1ELb0EEvPKfS1_S1_S1_S1_S1_Pfllllllllllll15HIP_vector_typeIjLj3EES4_fi.numbered_sgpr, 58
	.set _Z20gated_delta_net_cudaILi64ELb1ELb0EEvPKfS1_S1_S1_S1_S1_Pfllllllllllll15HIP_vector_typeIjLj3EES4_fi.num_named_barrier, 0
	.set _Z20gated_delta_net_cudaILi64ELb1ELb0EEvPKfS1_S1_S1_S1_S1_Pfllllllllllll15HIP_vector_typeIjLj3EES4_fi.private_seg_size, 0
	.set _Z20gated_delta_net_cudaILi64ELb1ELb0EEvPKfS1_S1_S1_S1_S1_Pfllllllllllll15HIP_vector_typeIjLj3EES4_fi.uses_vcc, 1
	.set _Z20gated_delta_net_cudaILi64ELb1ELb0EEvPKfS1_S1_S1_S1_S1_Pfllllllllllll15HIP_vector_typeIjLj3EES4_fi.uses_flat_scratch, 0
	.set _Z20gated_delta_net_cudaILi64ELb1ELb0EEvPKfS1_S1_S1_S1_S1_Pfllllllllllll15HIP_vector_typeIjLj3EES4_fi.has_dyn_sized_stack, 0
	.set _Z20gated_delta_net_cudaILi64ELb1ELb0EEvPKfS1_S1_S1_S1_S1_Pfllllllllllll15HIP_vector_typeIjLj3EES4_fi.has_recursion, 0
	.set _Z20gated_delta_net_cudaILi64ELb1ELb0EEvPKfS1_S1_S1_S1_S1_Pfllllllllllll15HIP_vector_typeIjLj3EES4_fi.has_indirect_call, 0
	.section	.AMDGPU.csdata,"",@progbits
; Kernel info:
; codeLenInByte = 1424
; TotalNumSgprs: 60
; NumVgprs: 32
; ScratchSize: 0
; MemoryBound: 0
; FloatMode: 240
; IeeeMode: 1
; LDSByteSize: 0 bytes/workgroup (compile time only)
; SGPRBlocks: 0
; VGPRBlocks: 1
; NumSGPRsForWavesPerEU: 60
; NumVGPRsForWavesPerEU: 32
; NamedBarCnt: 0
; Occupancy: 16
; WaveLimiterHint : 1
; COMPUTE_PGM_RSRC2:SCRATCH_EN: 0
; COMPUTE_PGM_RSRC2:USER_SGPR: 2
; COMPUTE_PGM_RSRC2:TRAP_HANDLER: 0
; COMPUTE_PGM_RSRC2:TGID_X_EN: 1
; COMPUTE_PGM_RSRC2:TGID_Y_EN: 1
; COMPUTE_PGM_RSRC2:TGID_Z_EN: 1
; COMPUTE_PGM_RSRC2:TIDIG_COMP_CNT: 1
	.section	.text._Z20gated_delta_net_cudaILi128ELb1ELb0EEvPKfS1_S1_S1_S1_S1_Pfllllllllllll15HIP_vector_typeIjLj3EES4_fi,"axG",@progbits,_Z20gated_delta_net_cudaILi128ELb1ELb0EEvPKfS1_S1_S1_S1_S1_Pfllllllllllll15HIP_vector_typeIjLj3EES4_fi,comdat
	.protected	_Z20gated_delta_net_cudaILi128ELb1ELb0EEvPKfS1_S1_S1_S1_S1_Pfllllllllllll15HIP_vector_typeIjLj3EES4_fi ; -- Begin function _Z20gated_delta_net_cudaILi128ELb1ELb0EEvPKfS1_S1_S1_S1_S1_Pfllllllllllll15HIP_vector_typeIjLj3EES4_fi
	.globl	_Z20gated_delta_net_cudaILi128ELb1ELb0EEvPKfS1_S1_S1_S1_S1_Pfllllllllllll15HIP_vector_typeIjLj3EES4_fi
	.p2align	8
	.type	_Z20gated_delta_net_cudaILi128ELb1ELb0EEvPKfS1_S1_S1_S1_S1_Pfllllllllllll15HIP_vector_typeIjLj3EES4_fi,@function
_Z20gated_delta_net_cudaILi128ELb1ELb0EEvPKfS1_S1_S1_S1_S1_Pfllllllllllll15HIP_vector_typeIjLj3EES4_fi: ; @_Z20gated_delta_net_cudaILi128ELb1ELb0EEvPKfS1_S1_S1_S1_S1_Pfllllllllllll15HIP_vector_typeIjLj3EES4_fi
; %bb.0:
	s_load_u16 s3, s[0:1], 0xc6
	s_bfe_u32 s2, ttmp6, 0x40010
	s_and_b32 s20, ttmp7, 0xffff
	s_add_co_i32 s2, s2, 1
	s_bfe_u32 s21, ttmp6, 0x40004
	s_mul_i32 s2, s20, s2
	s_bfe_u32 s23, ttmp6, 0x40014
	s_add_co_i32 s22, s21, s2
	s_bfe_u32 s2, ttmp6, 0x4000c
	s_lshr_b32 s24, ttmp7, 16
	s_add_co_i32 s2, s2, 1
	s_add_co_i32 s23, s23, 1
	s_and_b32 s21, ttmp6, 15
	s_mul_i32 s2, ttmp9, s2
	s_load_b512 s[4:19], s[0:1], 0x0
	s_mul_i32 s23, s24, s23
	s_bfe_u32 s25, ttmp6, 0x40008
	s_add_co_i32 s2, s21, s2
	s_getreg_b32 s21, hwreg(HW_REG_IB_STS2, 6, 4)
	s_add_co_i32 s25, s25, s23
	v_bfe_u32 v1, v0, 10, 10
	s_cmp_eq_u32 s21, 0
	v_and_b32_e32 v12, 0x3ff, v0
	s_cselect_b32 s21, s24, s25
	s_cselect_b32 s30, s20, s22
	s_wait_kmcnt 0x0
	v_mad_u32 v8, s21, s3, v1
	s_mov_b32 s3, 0
	s_cselect_b32 s2, ttmp9, s2
	s_mov_b32 s31, s3
	s_mov_b32 s21, s3
	s_lshl_b32 s20, s2, 14
	v_mov_b32_e32 v5, 0
	s_lshl_b64 s[20:21], s[20:21], 2
	v_lshlrev_b32_e32 v4, 2, v12
	s_mul_u64 s[28:29], s[18:19], s[30:31]
	s_load_b512 s[36:51], s[0:1], 0x40
	v_lshlrev_b32_e32 v0, 7, v8
	s_lshl_b64 s[22:23], s[28:29], 16
	s_delay_alu instid0(SALU_CYCLE_1) | instskip(NEXT) | instid1(VALU_DEP_1)
	s_add_nc_u64 s[14:15], s[14:15], s[22:23]
	v_ashrrev_i32_e32 v1, 31, v0
	s_add_nc_u64 s[14:15], s[14:15], s[20:21]
	s_delay_alu instid0(VALU_DEP_1) | instid1(SALU_CYCLE_1)
	v_lshl_add_u64 v[2:3], v[0:1], 2, s[14:15]
	s_delay_alu instid0(VALU_DEP_1)
	v_add_nc_u64_e32 v[10:11], v[2:3], v[4:5]
	s_clause 0x3
	global_load_b32 v6, v[10:11], off
	global_load_b32 v7, v[10:11], off offset:128
	global_load_b32 v2, v[10:11], off offset:256
	;; [unrolled: 1-line block ×3, first 2 shown]
	s_wait_kmcnt 0x0
	v_cmp_lt_i64_e64 s14, s[36:37], 1
	s_and_b32 vcc_lo, exec_lo, s14
	s_cbranch_vccnz .LBB7_5
; %bb.1:
	v_mbcnt_lo_u32_b32 v1, -1, 0
	s_clause 0x4
	s_load_b128 s[24:27], s[0:1], 0x98
	s_load_b128 s[20:23], s[0:1], 0x80
	s_load_b64 s[14:15], s[0:1], 0x90
	s_load_b32 s54, s[0:1], 0xa8
	s_load_b32 s33, s[0:1], 0xb0
	s_mul_u64 s[50:51], s[50:51], s[30:31]
	s_mov_b32 s53, s3
	s_lshl_b64 s[50:51], s[50:51], 2
	v_xor_b32_e32 v10, 8, v1
	v_xor_b32_e32 v9, 16, v1
	;; [unrolled: 1-line block ×3, first 2 shown]
	s_mov_b32 s35, s3
	s_add_nc_u64 s[8:9], s[8:9], s[50:51]
	s_wait_xcnt 0x0
	s_mul_u64 s[0:1], s[28:29], s[36:37]
	v_cmp_gt_i32_e32 vcc_lo, 32, v9
	s_mul_u64 s[46:47], s[46:47], s[2:3]
	s_add_nc_u64 s[0:1], s[0:1], s[2:3]
	s_lshl_b64 s[46:47], s[46:47], 2
	s_mov_b32 s55, s3
	v_dual_cndmask_b32 v13, v1, v9, vcc_lo :: v_dual_ashrrev_i32 v9, 31, v8
	v_cmp_gt_i32_e32 vcc_lo, 32, v10
	s_wait_kmcnt 0x0
	s_mov_b32 s52, s24
	s_mov_b32 s34, s27
	s_mul_u64 s[50:51], s[52:53], s[2:3]
	s_mul_u64 s[34:35], s[34:35], s[30:31]
	v_dual_cndmask_b32 v14, v1, v10, vcc_lo :: v_dual_bitop2_b32 v15, 1, v1 bitop3:0x14
	v_xor_b32_e32 v10, 2, v1
	v_cmp_gt_i32_e32 vcc_lo, 32, v11
	s_add_co_i32 s24, s2, s51
	s_add_co_i32 s27, s30, s35
	s_lshr_b32 s24, s24, s25
	s_lshr_b32 s54, s27, s54
	v_cndmask_b32_e32 v16, v1, v11, vcc_lo
	v_cmp_gt_i32_e32 vcc_lo, 32, v10
	s_mul_i32 s26, s24, s26
	s_lshl_b64 s[0:1], s[0:1], 9
	s_add_nc_u64 s[8:9], s[8:9], s[46:47]
	s_mov_b32 s57, s3
	v_cndmask_b32_e32 v17, v1, v10, vcc_lo
	v_cmp_gt_i32_e32 vcc_lo, 32, v15
	v_lshlrev_b64_e32 v[10:11], 2, v[8:9]
	s_mul_u64 s[24:25], s[44:45], s[54:55]
	s_sub_co_i32 s56, s2, s26
	s_lshl_b64 s[24:25], s[24:25], 2
	v_dual_cndmask_b32 v8, v1, v15 :: v_dual_lshlrev_b32 v1, 2, v13
	v_dual_lshlrev_b32 v13, 2, v14 :: v_dual_lshlrev_b32 v14, 2, v16
	s_delay_alu instid0(VALU_DEP_2)
	v_dual_lshlrev_b32 v15, 2, v17 :: v_dual_lshlrev_b32 v16, 2, v8
	v_add_nc_u64_e32 v[8:9], s[8:9], v[10:11]
	s_add_nc_u64 s[8:9], s[16:17], s[0:1]
	s_mul_u64 s[26:27], s[40:41], s[56:57]
	s_mul_u64 s[14:15], s[14:15], s[30:31]
	;; [unrolled: 1-line block ×3, first 2 shown]
	v_add_nc_u64_e32 v[10:11], s[8:9], v[10:11]
	s_add_nc_u64 s[4:5], s[4:5], s[24:25]
	s_lshl_b64 s[26:27], s[26:27], 2
	s_add_nc_u64 s[6:7], s[6:7], s[24:25]
	s_add_nc_u64 s[24:25], s[14:15], s[20:21]
	v_cmp_eq_u32_e64 s0, 0, v12
	s_add_nc_u64 s[4:5], s[4:5], s[26:27]
	s_add_nc_u64 s[6:7], s[6:7], s[26:27]
	s_lshl_b64 s[20:21], s[24:25], 9
	s_lshl_b64 s[26:27], s[24:25], 2
	;; [unrolled: 1-line block ×4, first 2 shown]
	s_add_nc_u64 s[10:11], s[10:11], s[20:21]
	s_lshl_b64 s[20:21], s[22:23], 9
	s_lshl_b64 s[24:25], s[48:49], 2
	s_add_nc_u64 s[12:13], s[12:13], s[26:27]
	s_lshl_b64 s[22:23], s[22:23], 2
	s_mov_b64 s[26:27], 0
	s_branch .LBB7_3
.LBB7_2:                                ;   in Loop: Header=BB7_3 Depth=1
	s_wait_xcnt 0x0
	s_or_b32 exec_lo, exec_lo, s1
	s_add_nc_u64 s[26:27], s[26:27], 1
	v_add_nc_u64_e32 v[10:11], s[8:9], v[10:11]
	v_cmp_le_i64_e64 s1, s[36:37], s[26:27]
	v_add_nc_u64_e32 v[8:9], s[24:25], v[8:9]
	s_add_nc_u64 s[4:5], s[4:5], s[14:15]
	s_add_nc_u64 s[10:11], s[10:11], s[20:21]
	;; [unrolled: 1-line block ×4, first 2 shown]
	s_and_b32 vcc_lo, exec_lo, s1
	s_cbranch_vccnz .LBB7_5
.LBB7_3:                                ; =>This Inner Loop Header: Depth=1
	s_wait_dscnt 0x0
	v_add_nc_u64_e32 v[18:19], s[10:11], v[4:5]
	s_clause 0x3
	global_load_b32 v17, v[18:19], off
	global_load_b32 v24, v[18:19], off offset:128
	global_load_b32 v25, v[18:19], off offset:256
	;; [unrolled: 1-line block ×3, first 2 shown]
	s_wait_xcnt 0x0
	v_add_nc_u64_e32 v[18:19], s[6:7], v[4:5]
	s_clause 0x3
	global_load_b32 v20, v[18:19], off
	global_load_b32 v22, v[18:19], off offset:256
	global_load_b32 v23, v[18:19], off offset:384
	;; [unrolled: 1-line block ×3, first 2 shown]
	global_load_b32 v28, v[8:9], off
	global_load_b32 v29, v5, s[12:13]
	s_wait_xcnt 0x2
	v_add_nc_u64_e32 v[18:19], s[4:5], v[4:5]
	s_clause 0x3
	global_load_b32 v30, v[18:19], off
	global_load_b32 v31, v[18:19], off offset:128
	global_load_b32 v32, v[18:19], off offset:256
	;; [unrolled: 1-line block ×3, first 2 shown]
	s_wait_loadcnt 0xc
	s_wait_xcnt 0x0
	v_dual_mul_f32 v18, 0x3fb8aa3b, v17 :: v_dual_mul_f32 v19, 0x3fb8aa3b, v24
	s_wait_loadcnt 0xa
	v_dual_mul_f32 v27, 0x3fb8aa3b, v25 :: v_dual_mul_f32 v34, 0x3fb8aa3b, v26
	v_cmp_ngt_f32_e32 vcc_lo, 0xc2ce8ed0, v17
	s_delay_alu instid0(VALU_DEP_3)
	v_fma_f32 v35, 0x3fb8aa3b, v17, -v18
	v_rndne_f32_e32 v36, v18
	v_fma_f32 v37, 0x3fb8aa3b, v24, -v19
	v_rndne_f32_e32 v38, v19
	v_fma_f32 v41, 0x3fb8aa3b, v26, -v34
	v_rndne_f32_e32 v42, v34
	v_dual_fmac_f32 v35, 0x32a5705f, v17 :: v_dual_sub_f32 v18, v18, v36
	v_rndne_f32_e32 v40, v27
	s_delay_alu instid0(VALU_DEP_3) | instskip(NEXT) | instid1(VALU_DEP_3)
	v_dual_fmac_f32 v37, 0x32a5705f, v24 :: v_dual_sub_f32 v34, v34, v42
	v_dual_sub_f32 v19, v19, v38 :: v_dual_add_f32 v18, v18, v35
	v_fmac_f32_e32 v41, 0x32a5705f, v26
	v_fma_f32 v39, 0x3fb8aa3b, v25, -v27
	v_sub_f32_e32 v27, v27, v40
	v_cvt_i32_f32_e32 v36, v36
	v_exp_f32_e32 v18, v18
	v_add_f32_e32 v34, v34, v41
	v_add_f32_e32 v19, v19, v37
	v_cvt_i32_f32_e32 v35, v38
	v_cvt_i32_f32_e32 v38, v42
	;; [unrolled: 1-line block ×3, first 2 shown]
	v_exp_f32_e32 v34, v34
	v_ldexp_f32 v18, v18, v36
	v_fmac_f32_e32 v39, 0x32a5705f, v25
	v_exp_f32_e32 v19, v19
	s_delay_alu instid0(VALU_DEP_2) | instskip(NEXT) | instid1(TRANS32_DEP_2)
	v_cndmask_b32_e32 v18, 0, v18, vcc_lo
	v_ldexp_f32 v34, v34, v38
	s_delay_alu instid0(VALU_DEP_3) | instskip(SKIP_1) | instid1(TRANS32_DEP_1)
	v_add_f32_e32 v27, v27, v39
	v_cmp_ngt_f32_e32 vcc_lo, 0xc2ce8ed0, v24
	v_ldexp_f32 v19, v19, v35
	s_delay_alu instid0(VALU_DEP_3) | instskip(NEXT) | instid1(VALU_DEP_1)
	v_exp_f32_e32 v27, v27
	v_cndmask_b32_e32 v19, 0, v19, vcc_lo
	v_cmp_ngt_f32_e32 vcc_lo, 0xc2ce8ed0, v25
	s_delay_alu instid0(TRANS32_DEP_1) | instskip(NEXT) | instid1(VALU_DEP_1)
	v_ldexp_f32 v27, v27, v37
	v_cndmask_b32_e32 v27, 0, v27, vcc_lo
	v_cmp_ngt_f32_e32 vcc_lo, 0xc2ce8ed0, v26
	v_cndmask_b32_e32 v34, 0, v34, vcc_lo
	v_cmp_nlt_f32_e32 vcc_lo, 0x42b17218, v17
	v_cndmask_b32_e32 v18, 0x7f800000, v18, vcc_lo
	v_cmp_nlt_f32_e32 vcc_lo, 0x42b17218, v24
	;; [unrolled: 2-line block ×3, first 2 shown]
	s_delay_alu instid0(VALU_DEP_2)
	v_mul_f32_e32 v17, v7, v19
	v_cndmask_b32_e32 v24, 0x7f800000, v27, vcc_lo
	v_cmp_nlt_f32_e32 vcc_lo, 0x42b17218, v26
	v_pk_mul_f32 v[26:27], v[6:7], v[18:19]
	v_cndmask_b32_e32 v25, 0x7f800000, v34, vcc_lo
	s_wait_loadcnt 0x9
	s_delay_alu instid0(VALU_DEP_2) | instskip(NEXT) | instid1(VALU_DEP_2)
	v_fma_f32 v18, v20, v26, 0
	v_pk_mul_f32 v[6:7], v[2:3], v[24:25]
	s_wait_loadcnt 0x6
	s_delay_alu instid0(VALU_DEP_2) | instskip(NEXT) | instid1(VALU_DEP_2)
	v_fmac_f32_e32 v18, v21, v17
	v_pk_mul_f32 v[6:7], v[22:23], v[6:7]
	s_delay_alu instid0(VALU_DEP_1) | instskip(NEXT) | instid1(VALU_DEP_1)
	v_add_f32_e32 v6, v18, v6
	v_add_f32_e32 v6, v6, v7
	ds_bpermute_b32 v7, v1, v6
	s_wait_dscnt 0x0
	v_add_f32_e32 v6, v6, v7
	ds_bpermute_b32 v7, v13, v6
	s_wait_dscnt 0x0
	;; [unrolled: 3-line block ×5, first 2 shown]
	v_add_f32_e32 v6, v6, v7
	s_wait_loadcnt 0x5
	s_delay_alu instid0(VALU_DEP_1) | instskip(SKIP_1) | instid1(VALU_DEP_1)
	v_sub_f32_e32 v6, v28, v6
	s_wait_loadcnt 0x4
	v_mul_f32_e32 v18, v29, v6
	s_delay_alu instid0(VALU_DEP_1) | instskip(SKIP_3) | instid1(VALU_DEP_3)
	v_pk_fma_f32 v[6:7], v[18:19], v[20:21], v[26:27] op_sel_hi:[0,1,1]
	v_dual_mov_b32 v19, v3 :: v_dual_mul_f32 v2, v2, v24
	v_mov_b32_e32 v24, v23
	s_wait_loadcnt 0x3
	v_fma_f32 v17, v30, v6, 0
	s_delay_alu instid0(VALU_DEP_2) | instskip(SKIP_1) | instid1(VALU_DEP_2)
	v_pk_mul_f32 v[20:21], v[18:19], v[24:25]
	s_wait_loadcnt 0x2
	v_dual_mul_f32 v18, v18, v22 :: v_dual_fmac_f32 v17, v31, v7
	s_delay_alu instid0(VALU_DEP_2) | instskip(NEXT) | instid1(VALU_DEP_1)
	v_dual_mov_b32 v19, v20 :: v_dual_mov_b32 v3, v21
	v_pk_add_f32 v[2:3], v[18:19], v[2:3]
	s_wait_loadcnt 0x1
	s_delay_alu instid0(VALU_DEP_1) | instskip(SKIP_1) | instid1(VALU_DEP_1)
	v_fmac_f32_e32 v17, v32, v2
	s_wait_loadcnt 0x0
	v_fmac_f32_e32 v17, v33, v3
	ds_bpermute_b32 v18, v1, v17
	s_wait_dscnt 0x0
	v_add_f32_e32 v17, v17, v18
	ds_bpermute_b32 v18, v13, v17
	s_wait_dscnt 0x0
	v_add_f32_e32 v17, v17, v18
	;; [unrolled: 3-line block ×4, first 2 shown]
	ds_bpermute_b32 v18, v16, v17
	s_and_saveexec_b32 s1, s0
	s_cbranch_execz .LBB7_2
; %bb.4:                                ;   in Loop: Header=BB7_3 Depth=1
	s_wait_dscnt 0x0
	v_add_f32_e32 v17, v17, v18
	s_delay_alu instid0(VALU_DEP_1)
	v_mul_f32_e32 v17, s33, v17
	global_store_b32 v[10:11], v17, off
	s_branch .LBB7_2
.LBB7_5:
	s_mul_u64 s[0:1], s[18:19], s[36:37]
	s_add_nc_u64 s[2:3], s[28:29], s[2:3]
	s_mul_u64 s[0:1], s[0:1], s[38:39]
	v_add_nc_u32_e32 v0, v0, v12
	s_lshl_b64 s[0:1], s[0:1], 9
	s_lshl_b64 s[2:3], s[2:3], 16
	s_add_nc_u64 s[0:1], s[16:17], s[0:1]
	s_delay_alu instid0(SALU_CYCLE_1)
	s_add_nc_u64 s[0:1], s[0:1], s[2:3]
	s_wait_loadcnt 0x3
	global_store_b32 v0, v6, s[0:1] scale_offset
	s_wait_loadcnt 0x2
	global_store_b32 v0, v7, s[0:1] offset:128 scale_offset
	s_wait_loadcnt 0x1
	global_store_b32 v0, v2, s[0:1] offset:256 scale_offset
	;; [unrolled: 2-line block ×3, first 2 shown]
	s_endpgm
	.section	.rodata,"a",@progbits
	.p2align	6, 0x0
	.amdhsa_kernel _Z20gated_delta_net_cudaILi128ELb1ELb0EEvPKfS1_S1_S1_S1_S1_Pfllllllllllll15HIP_vector_typeIjLj3EES4_fi
		.amdhsa_group_segment_fixed_size 0
		.amdhsa_private_segment_fixed_size 0
		.amdhsa_kernarg_size 440
		.amdhsa_user_sgpr_count 2
		.amdhsa_user_sgpr_dispatch_ptr 0
		.amdhsa_user_sgpr_queue_ptr 0
		.amdhsa_user_sgpr_kernarg_segment_ptr 1
		.amdhsa_user_sgpr_dispatch_id 0
		.amdhsa_user_sgpr_kernarg_preload_length 0
		.amdhsa_user_sgpr_kernarg_preload_offset 0
		.amdhsa_user_sgpr_private_segment_size 0
		.amdhsa_wavefront_size32 1
		.amdhsa_uses_dynamic_stack 0
		.amdhsa_enable_private_segment 0
		.amdhsa_system_sgpr_workgroup_id_x 1
		.amdhsa_system_sgpr_workgroup_id_y 1
		.amdhsa_system_sgpr_workgroup_id_z 1
		.amdhsa_system_sgpr_workgroup_info 0
		.amdhsa_system_vgpr_workitem_id 1
		.amdhsa_next_free_vgpr 43
		.amdhsa_next_free_sgpr 58
		.amdhsa_named_barrier_count 0
		.amdhsa_reserve_vcc 1
		.amdhsa_float_round_mode_32 0
		.amdhsa_float_round_mode_16_64 0
		.amdhsa_float_denorm_mode_32 3
		.amdhsa_float_denorm_mode_16_64 3
		.amdhsa_fp16_overflow 0
		.amdhsa_memory_ordered 1
		.amdhsa_forward_progress 1
		.amdhsa_inst_pref_size 14
		.amdhsa_round_robin_scheduling 0
		.amdhsa_exception_fp_ieee_invalid_op 0
		.amdhsa_exception_fp_denorm_src 0
		.amdhsa_exception_fp_ieee_div_zero 0
		.amdhsa_exception_fp_ieee_overflow 0
		.amdhsa_exception_fp_ieee_underflow 0
		.amdhsa_exception_fp_ieee_inexact 0
		.amdhsa_exception_int_div_zero 0
	.end_amdhsa_kernel
	.section	.text._Z20gated_delta_net_cudaILi128ELb1ELb0EEvPKfS1_S1_S1_S1_S1_Pfllllllllllll15HIP_vector_typeIjLj3EES4_fi,"axG",@progbits,_Z20gated_delta_net_cudaILi128ELb1ELb0EEvPKfS1_S1_S1_S1_S1_Pfllllllllllll15HIP_vector_typeIjLj3EES4_fi,comdat
.Lfunc_end7:
	.size	_Z20gated_delta_net_cudaILi128ELb1ELb0EEvPKfS1_S1_S1_S1_S1_Pfllllllllllll15HIP_vector_typeIjLj3EES4_fi, .Lfunc_end7-_Z20gated_delta_net_cudaILi128ELb1ELb0EEvPKfS1_S1_S1_S1_S1_Pfllllllllllll15HIP_vector_typeIjLj3EES4_fi
                                        ; -- End function
	.set _Z20gated_delta_net_cudaILi128ELb1ELb0EEvPKfS1_S1_S1_S1_S1_Pfllllllllllll15HIP_vector_typeIjLj3EES4_fi.num_vgpr, 43
	.set _Z20gated_delta_net_cudaILi128ELb1ELb0EEvPKfS1_S1_S1_S1_S1_Pfllllllllllll15HIP_vector_typeIjLj3EES4_fi.num_agpr, 0
	.set _Z20gated_delta_net_cudaILi128ELb1ELb0EEvPKfS1_S1_S1_S1_S1_Pfllllllllllll15HIP_vector_typeIjLj3EES4_fi.numbered_sgpr, 58
	.set _Z20gated_delta_net_cudaILi128ELb1ELb0EEvPKfS1_S1_S1_S1_S1_Pfllllllllllll15HIP_vector_typeIjLj3EES4_fi.num_named_barrier, 0
	.set _Z20gated_delta_net_cudaILi128ELb1ELb0EEvPKfS1_S1_S1_S1_S1_Pfllllllllllll15HIP_vector_typeIjLj3EES4_fi.private_seg_size, 0
	.set _Z20gated_delta_net_cudaILi128ELb1ELb0EEvPKfS1_S1_S1_S1_S1_Pfllllllllllll15HIP_vector_typeIjLj3EES4_fi.uses_vcc, 1
	.set _Z20gated_delta_net_cudaILi128ELb1ELb0EEvPKfS1_S1_S1_S1_S1_Pfllllllllllll15HIP_vector_typeIjLj3EES4_fi.uses_flat_scratch, 0
	.set _Z20gated_delta_net_cudaILi128ELb1ELb0EEvPKfS1_S1_S1_S1_S1_Pfllllllllllll15HIP_vector_typeIjLj3EES4_fi.has_dyn_sized_stack, 0
	.set _Z20gated_delta_net_cudaILi128ELb1ELb0EEvPKfS1_S1_S1_S1_S1_Pfllllllllllll15HIP_vector_typeIjLj3EES4_fi.has_recursion, 0
	.set _Z20gated_delta_net_cudaILi128ELb1ELb0EEvPKfS1_S1_S1_S1_S1_Pfllllllllllll15HIP_vector_typeIjLj3EES4_fi.has_indirect_call, 0
	.section	.AMDGPU.csdata,"",@progbits
; Kernel info:
; codeLenInByte = 1792
; TotalNumSgprs: 60
; NumVgprs: 43
; ScratchSize: 0
; MemoryBound: 0
; FloatMode: 240
; IeeeMode: 1
; LDSByteSize: 0 bytes/workgroup (compile time only)
; SGPRBlocks: 0
; VGPRBlocks: 2
; NumSGPRsForWavesPerEU: 60
; NumVGPRsForWavesPerEU: 43
; NamedBarCnt: 0
; Occupancy: 16
; WaveLimiterHint : 1
; COMPUTE_PGM_RSRC2:SCRATCH_EN: 0
; COMPUTE_PGM_RSRC2:USER_SGPR: 2
; COMPUTE_PGM_RSRC2:TRAP_HANDLER: 0
; COMPUTE_PGM_RSRC2:TGID_X_EN: 1
; COMPUTE_PGM_RSRC2:TGID_Y_EN: 1
; COMPUTE_PGM_RSRC2:TGID_Z_EN: 1
; COMPUTE_PGM_RSRC2:TIDIG_COMP_CNT: 1
	.section	.text._Z20gated_delta_net_cudaILi16ELb0ELb1EEvPKfS1_S1_S1_S1_S1_Pfllllllllllll15HIP_vector_typeIjLj3EES4_fi,"axG",@progbits,_Z20gated_delta_net_cudaILi16ELb0ELb1EEvPKfS1_S1_S1_S1_S1_Pfllllllllllll15HIP_vector_typeIjLj3EES4_fi,comdat
	.protected	_Z20gated_delta_net_cudaILi16ELb0ELb1EEvPKfS1_S1_S1_S1_S1_Pfllllllllllll15HIP_vector_typeIjLj3EES4_fi ; -- Begin function _Z20gated_delta_net_cudaILi16ELb0ELb1EEvPKfS1_S1_S1_S1_S1_Pfllllllllllll15HIP_vector_typeIjLj3EES4_fi
	.globl	_Z20gated_delta_net_cudaILi16ELb0ELb1EEvPKfS1_S1_S1_S1_S1_Pfllllllllllll15HIP_vector_typeIjLj3EES4_fi
	.p2align	8
	.type	_Z20gated_delta_net_cudaILi16ELb0ELb1EEvPKfS1_S1_S1_S1_S1_Pfllllllllllll15HIP_vector_typeIjLj3EES4_fi,@function
_Z20gated_delta_net_cudaILi16ELb0ELb1EEvPKfS1_S1_S1_S1_S1_Pfllllllllllll15HIP_vector_typeIjLj3EES4_fi: ; @_Z20gated_delta_net_cudaILi16ELb0ELb1EEvPKfS1_S1_S1_S1_S1_Pfllllllllllll15HIP_vector_typeIjLj3EES4_fi
; %bb.0:
	s_load_b512 s[4:19], s[0:1], 0x40
	s_wait_kmcnt 0x0
	v_cmp_lt_i64_e64 s2, s[4:5], 1
	s_and_b32 vcc_lo, exec_lo, s2
	s_cbranch_vccnz .LBB8_7
; %bb.1:
	s_bfe_u32 s2, ttmp6, 0x4000c
	s_load_u16 s3, s[0:1], 0xc6
	s_add_co_i32 s2, s2, 1
	s_and_b32 s20, ttmp6, 15
	s_mul_i32 s2, ttmp9, s2
	s_getreg_b32 s22, hwreg(HW_REG_IB_STS2, 6, 4)
	s_add_co_i32 s20, s20, s2
	s_cmp_eq_u32 s22, 0
	s_load_b512 s[36:51], s[0:1], 0x0
	s_cselect_b32 s24, ttmp9, s20
	s_bfe_u32 s2, ttmp6, 0x40014
	s_lshr_b32 s20, ttmp7, 16
	s_add_co_i32 s2, s2, 1
	s_bfe_u32 s21, ttmp6, 0x40008
	s_mul_i32 s2, s20, s2
	v_bfe_u32 v1, v0, 10, 10
	s_add_co_i32 s21, s21, s2
	s_cmp_eq_u32 s22, 0
	v_and_b32_e32 v15, 0x3ff, v0
	s_cselect_b32 s2, s20, s21
	s_and_b32 s20, ttmp7, 0xffff
	s_wait_kmcnt 0x0
	v_mad_u32 v2, s2, s3, v1
	s_bfe_u32 s2, ttmp6, 0x40010
	s_bfe_u32 s3, ttmp6, 0x40004
	s_add_co_i32 s2, s2, 1
	s_mov_b32 s21, 0
	s_mul_i32 s2, s20, s2
	s_mov_b32 s25, s21
	s_add_co_i32 s2, s3, s2
	s_cmp_eq_u32 s22, 0
	s_mov_b32 s3, s21
	s_cselect_b32 s20, s20, s2
	v_dual_lshlrev_b32 v4, 4, v2 :: v_dual_lshlrev_b32 v0, 2, v15
	s_mul_u64 s[26:27], s[50:51], s[20:21]
	s_lshl_b32 s2, s24, 8
	s_lshl_b64 s[22:23], s[26:27], 10
	s_delay_alu instid0(VALU_DEP_1)
	v_dual_ashrrev_i32 v5, 31, v4 :: v_dual_mov_b32 v1, 0
	s_lshl_b64 s[2:3], s[2:3], 2
	s_add_nc_u64 s[22:23], s[46:47], s[22:23]
	s_mul_u64 s[18:19], s[18:19], s[20:21]
	s_add_nc_u64 s[2:3], s[22:23], s[2:3]
	s_mul_u64 s[34:35], s[26:27], s[4:5]
	v_lshl_add_u64 v[6:7], v[4:5], 2, s[2:3]
	v_mbcnt_lo_u32_b32 v5, -1, 0
	s_mul_u64 s[6:7], s[50:51], s[6:7]
	s_lshl_b64 s[18:19], s[18:19], 2
	s_mul_u64 s[14:15], s[14:15], s[24:25]
	v_add_nc_u64_e32 v[6:7], v[6:7], v[0:1]
	v_xor_b32_e32 v8, 2, v5
	s_add_nc_u64 s[34:35], s[34:35], s[24:25]
	s_mul_u64 s[52:53], s[6:7], s[4:5]
	s_add_nc_u64 s[18:19], s[40:41], s[18:19]
	s_lshl_b64 s[14:15], s[14:15], 2
	s_lshl_b64 s[34:35], s[34:35], 6
	global_load_b32 v10, v[6:7], off
	s_wait_xcnt 0x0
	v_xor_b32_e32 v7, 4, v5
	v_and_b32_e32 v3, 16, v5
	s_clause 0x3
	s_load_b128 s[28:31], s[0:1], 0x98
	s_load_b32 s33, s[0:1], 0xa8
	s_load_b64 s[22:23], s[0:1], 0xb0
	s_load_b64 s[46:47], s[0:1], 0x90
	s_wait_xcnt 0x0
	s_load_b128 s[0:3], s[0:1], 0x80
	s_add_nc_u64 s[26:27], s[26:27], s[24:25]
	s_lshl_b64 s[52:53], s[52:53], 6
	v_dual_add_nc_u32 v6, 16, v3 :: v_dual_bitop2_b32 v3, 8, v5 bitop3:0x14
	s_add_nc_u64 s[14:15], s[18:19], s[14:15]
	s_add_nc_u64 s[52:53], s[48:49], s[52:53]
	s_lshl_b64 s[6:7], s[6:7], 8
	v_add_nc_u32_e32 v4, v4, v15
	v_cmp_lt_i32_e32 vcc_lo, v3, v6
	v_cndmask_b32_e32 v11, v5, v3, vcc_lo
	v_cmp_lt_i32_e32 vcc_lo, v7, v6
	v_ashrrev_i32_e32 v3, 31, v2
	s_wait_kmcnt 0x0
	s_mul_hi_u32 s28, s28, s24
	s_mul_hi_u32 s31, s31, s20
	s_add_co_i32 s28, s24, s28
	v_cndmask_b32_e32 v7, v5, v7, vcc_lo
	v_cmp_lt_i32_e32 vcc_lo, v8, v6
	v_xor_b32_e32 v12, 1, v5
	s_lshr_b32 s28, s28, s29
	s_add_co_i32 s29, s20, s31
	s_mul_i32 s30, s28, s30
	v_cndmask_b32_e32 v13, v5, v8, vcc_lo
	v_cmp_lt_i32_e32 vcc_lo, v12, v6
	v_lshlrev_b64_e32 v[8:9], 2, v[2:3]
	s_lshr_b32 s28, s29, s33
	s_sub_co_i32 s30, s24, s30
	s_mov_b32 s29, s21
	v_dual_cndmask_b32 v2, v5, v12 :: v_dual_lshlrev_b32 v11, 2, v11
	s_mov_b32 s31, s21
	s_mul_u64 s[12:13], s[12:13], s[28:29]
	s_mul_u64 s[8:9], s[8:9], s[30:31]
	s_delay_alu instid0(VALU_DEP_1)
	v_lshlrev_b32_e32 v14, 2, v2
	s_lshl_b64 s[12:13], s[12:13], 2
	s_lshl_b64 s[8:9], s[8:9], 2
	v_ashrrev_i32_e32 v5, 31, v4
	s_add_nc_u64 s[8:9], s[12:13], s[8:9]
	v_dual_lshlrev_b32 v12, 2, v7 :: v_dual_lshlrev_b32 v13, 2, v13
	v_add_nc_u64_e32 v[2:3], s[14:15], v[8:9]
	s_lshl_b64 s[14:15], s[26:27], 10
	v_add_nc_u64_e32 v[6:7], s[8:9], v[0:1]
	s_lshl_b64 s[8:9], s[10:11], 2
	s_add_nc_u64 s[10:11], s[48:49], s[34:35]
	s_add_nc_u64 s[14:15], s[52:53], s[14:15]
	v_add_nc_u64_e32 v[8:9], s[10:11], v[8:9]
	s_mul_u64 s[18:19], s[46:47], s[20:21]
	s_mul_u64 s[24:25], s[0:1], s[24:25]
	v_cmp_eq_u32_e64 s0, 0, v15
	v_lshl_add_u64 v[4:5], v[4:5], 2, s[14:15]
	s_add_nc_u64 s[12:13], s[18:19], s[24:25]
	s_add_co_i32 s20, s4, -1
	s_lshl_b64 s[10:11], s[16:17], 2
	s_lshl_b64 s[12:13], s[12:13], 2
	;; [unrolled: 1-line block ×4, first 2 shown]
	s_mov_b64 s[16:17], 0
	s_branch .LBB8_3
.LBB8_2:                                ;   in Loop: Header=BB8_3 Depth=1
	s_add_nc_u64 s[16:17], s[16:17], 1
	v_add_nc_u64_e32 v[6:7], s[8:9], v[6:7]
	v_cmp_le_i64_e64 s1, s[4:5], s[16:17]
	v_add_nc_u64_e32 v[2:3], s[10:11], v[2:3]
	v_add_nc_u64_e32 v[8:9], s[14:15], v[8:9]
	s_add_co_i32 s20, s20, -1
	s_add_nc_u64 s[12:13], s[12:13], s[2:3]
	s_and_b32 vcc_lo, exec_lo, s1
	s_cbranch_vccnz .LBB8_7
.LBB8_3:                                ; =>This Inner Loop Header: Depth=1
	s_wait_xcnt 0x0
	v_add_nc_u64_e32 v[16:17], s[38:39], v[6:7]
	s_add_nc_u64 s[18:19], s[42:43], s[12:13]
	global_load_b32 v0, v[16:17], off
	s_wait_dscnt 0x0
	global_load_b32 v15, v1, s[18:19]
	global_load_b32 v18, v[2:3], off
	s_wait_xcnt 0x1
	s_add_nc_u64 s[18:19], s[44:45], s[12:13]
	v_add_nc_u64_e32 v[16:17], s[36:37], v[6:7]
	global_load_b32 v19, v1, s[18:19]
	global_load_b32 v16, v[16:17], off
	s_wait_loadcnt 0x3
	v_readfirstlane_b32 s1, v15
	s_wait_xcnt 0x0
	v_fma_f32 v17, v10, v0, 0
	v_cmp_ngt_f32_e32 vcc_lo, 0xc2ce8ed0, v15
	s_mul_f32 s1, s1, 0x3fb8aa3b
	ds_bpermute_b32 v20, v11, v17
	s_xor_b32 s18, s1, 0x80000000
	s_delay_alu instid0(SALU_CYCLE_1) | instskip(SKIP_1) | instid1(SALU_CYCLE_3)
	v_fma_f32 v21, 0x3fb8aa3b, v15, s18
	s_rndne_f32 s18, s1
	s_sub_f32 s1, s1, s18
	s_delay_alu instid0(VALU_DEP_1)
	v_fmac_f32_e32 v21, 0x32a5705f, v15
	s_wait_dscnt 0x0
	v_add_f32_e32 v17, v17, v20
	ds_bpermute_b32 v20, v12, v17
	s_wait_dscnt 0x0
	v_add_f32_e32 v17, v17, v20
	ds_bpermute_b32 v20, v13, v17
	s_wait_dscnt 0x0
	v_dual_add_f32 v17, v17, v20 :: v_dual_add_f32 v20, s1, v21
	s_cvt_i32_f32 s1, s18
	ds_bpermute_b32 v21, v14, v17
	v_exp_f32_e32 v20, v20
	v_nop
	s_delay_alu instid0(TRANS32_DEP_1) | instskip(NEXT) | instid1(VALU_DEP_1)
	v_ldexp_f32 v20, v20, s1
	v_cndmask_b32_e32 v20, 0, v20, vcc_lo
	v_cmp_nlt_f32_e32 vcc_lo, 0x42b17218, v15
	s_delay_alu instid0(VALU_DEP_2) | instskip(SKIP_1) | instid1(VALU_DEP_1)
	v_cndmask_b32_e32 v15, 0x7f800000, v20, vcc_lo
	s_wait_dscnt 0x0
	v_dual_add_f32 v17, v17, v21 :: v_dual_mul_f32 v10, v15, v10
	s_wait_loadcnt 0x2
	s_delay_alu instid0(VALU_DEP_1) | instskip(SKIP_1) | instid1(VALU_DEP_1)
	v_fma_f32 v17, -v15, v17, v18
	s_wait_loadcnt 0x1
	v_mul_f32_e32 v17, v19, v17
	s_delay_alu instid0(VALU_DEP_1) | instskip(SKIP_1) | instid1(VALU_DEP_1)
	v_fmac_f32_e32 v10, v0, v17
	s_wait_loadcnt 0x0
	v_fma_f32 v0, v16, v10, 0
	ds_bpermute_b32 v15, v11, v0
	s_wait_dscnt 0x0
	v_add_f32_e32 v0, v0, v15
	ds_bpermute_b32 v15, v12, v0
	s_wait_dscnt 0x0
	v_add_f32_e32 v0, v0, v15
	;; [unrolled: 3-line block ×3, first 2 shown]
	ds_bpermute_b32 v15, v14, v0
	s_and_saveexec_b32 s1, s0
	s_cbranch_execz .LBB8_5
; %bb.4:                                ;   in Loop: Header=BB8_3 Depth=1
	s_wait_dscnt 0x0
	v_add_f32_e32 v0, v0, v15
	s_delay_alu instid0(VALU_DEP_1)
	v_mul_f32_e32 v0, s22, v0
	global_store_b32 v[8:9], v0, off
.LBB8_5:                                ;   in Loop: Header=BB8_3 Depth=1
	s_wait_xcnt 0x0
	s_or_b32 exec_lo, exec_lo, s1
	s_cmp_lt_i32 s20, 0
	s_cselect_b32 s1, -1, 0
	s_cmp_ge_i32 s20, s23
	s_cselect_b32 s18, -1, 0
	s_delay_alu instid0(SALU_CYCLE_1) | instskip(NEXT) | instid1(SALU_CYCLE_1)
	s_or_b32 s1, s1, s18
	s_and_b32 vcc_lo, exec_lo, s1
	s_cbranch_vccnz .LBB8_2
; %bb.6:                                ;   in Loop: Header=BB8_3 Depth=1
	s_mul_u64 s[18:19], s[6:7], s[20:21]
	s_delay_alu instid0(SALU_CYCLE_1)
	v_lshl_add_u64 v[16:17], s[18:19], 2, v[4:5]
	global_store_b32 v[16:17], v10, off
	s_branch .LBB8_2
.LBB8_7:
	s_endpgm
	.section	.rodata,"a",@progbits
	.p2align	6, 0x0
	.amdhsa_kernel _Z20gated_delta_net_cudaILi16ELb0ELb1EEvPKfS1_S1_S1_S1_S1_Pfllllllllllll15HIP_vector_typeIjLj3EES4_fi
		.amdhsa_group_segment_fixed_size 0
		.amdhsa_private_segment_fixed_size 0
		.amdhsa_kernarg_size 440
		.amdhsa_user_sgpr_count 2
		.amdhsa_user_sgpr_dispatch_ptr 0
		.amdhsa_user_sgpr_queue_ptr 0
		.amdhsa_user_sgpr_kernarg_segment_ptr 1
		.amdhsa_user_sgpr_dispatch_id 0
		.amdhsa_user_sgpr_kernarg_preload_length 0
		.amdhsa_user_sgpr_kernarg_preload_offset 0
		.amdhsa_user_sgpr_private_segment_size 0
		.amdhsa_wavefront_size32 1
		.amdhsa_uses_dynamic_stack 0
		.amdhsa_enable_private_segment 0
		.amdhsa_system_sgpr_workgroup_id_x 1
		.amdhsa_system_sgpr_workgroup_id_y 1
		.amdhsa_system_sgpr_workgroup_id_z 1
		.amdhsa_system_sgpr_workgroup_info 0
		.amdhsa_system_vgpr_workitem_id 1
		.amdhsa_next_free_vgpr 22
		.amdhsa_next_free_sgpr 54
		.amdhsa_named_barrier_count 0
		.amdhsa_reserve_vcc 1
		.amdhsa_float_round_mode_32 0
		.amdhsa_float_round_mode_16_64 0
		.amdhsa_float_denorm_mode_32 3
		.amdhsa_float_denorm_mode_16_64 3
		.amdhsa_fp16_overflow 0
		.amdhsa_memory_ordered 1
		.amdhsa_forward_progress 1
		.amdhsa_inst_pref_size 10
		.amdhsa_round_robin_scheduling 0
		.amdhsa_exception_fp_ieee_invalid_op 0
		.amdhsa_exception_fp_denorm_src 0
		.amdhsa_exception_fp_ieee_div_zero 0
		.amdhsa_exception_fp_ieee_overflow 0
		.amdhsa_exception_fp_ieee_underflow 0
		.amdhsa_exception_fp_ieee_inexact 0
		.amdhsa_exception_int_div_zero 0
	.end_amdhsa_kernel
	.section	.text._Z20gated_delta_net_cudaILi16ELb0ELb1EEvPKfS1_S1_S1_S1_S1_Pfllllllllllll15HIP_vector_typeIjLj3EES4_fi,"axG",@progbits,_Z20gated_delta_net_cudaILi16ELb0ELb1EEvPKfS1_S1_S1_S1_S1_Pfllllllllllll15HIP_vector_typeIjLj3EES4_fi,comdat
.Lfunc_end8:
	.size	_Z20gated_delta_net_cudaILi16ELb0ELb1EEvPKfS1_S1_S1_S1_S1_Pfllllllllllll15HIP_vector_typeIjLj3EES4_fi, .Lfunc_end8-_Z20gated_delta_net_cudaILi16ELb0ELb1EEvPKfS1_S1_S1_S1_S1_Pfllllllllllll15HIP_vector_typeIjLj3EES4_fi
                                        ; -- End function
	.set _Z20gated_delta_net_cudaILi16ELb0ELb1EEvPKfS1_S1_S1_S1_S1_Pfllllllllllll15HIP_vector_typeIjLj3EES4_fi.num_vgpr, 22
	.set _Z20gated_delta_net_cudaILi16ELb0ELb1EEvPKfS1_S1_S1_S1_S1_Pfllllllllllll15HIP_vector_typeIjLj3EES4_fi.num_agpr, 0
	.set _Z20gated_delta_net_cudaILi16ELb0ELb1EEvPKfS1_S1_S1_S1_S1_Pfllllllllllll15HIP_vector_typeIjLj3EES4_fi.numbered_sgpr, 54
	.set _Z20gated_delta_net_cudaILi16ELb0ELb1EEvPKfS1_S1_S1_S1_S1_Pfllllllllllll15HIP_vector_typeIjLj3EES4_fi.num_named_barrier, 0
	.set _Z20gated_delta_net_cudaILi16ELb0ELb1EEvPKfS1_S1_S1_S1_S1_Pfllllllllllll15HIP_vector_typeIjLj3EES4_fi.private_seg_size, 0
	.set _Z20gated_delta_net_cudaILi16ELb0ELb1EEvPKfS1_S1_S1_S1_S1_Pfllllllllllll15HIP_vector_typeIjLj3EES4_fi.uses_vcc, 1
	.set _Z20gated_delta_net_cudaILi16ELb0ELb1EEvPKfS1_S1_S1_S1_S1_Pfllllllllllll15HIP_vector_typeIjLj3EES4_fi.uses_flat_scratch, 0
	.set _Z20gated_delta_net_cudaILi16ELb0ELb1EEvPKfS1_S1_S1_S1_S1_Pfllllllllllll15HIP_vector_typeIjLj3EES4_fi.has_dyn_sized_stack, 0
	.set _Z20gated_delta_net_cudaILi16ELb0ELb1EEvPKfS1_S1_S1_S1_S1_Pfllllllllllll15HIP_vector_typeIjLj3EES4_fi.has_recursion, 0
	.set _Z20gated_delta_net_cudaILi16ELb0ELb1EEvPKfS1_S1_S1_S1_S1_Pfllllllllllll15HIP_vector_typeIjLj3EES4_fi.has_indirect_call, 0
	.section	.AMDGPU.csdata,"",@progbits
; Kernel info:
; codeLenInByte = 1188
; TotalNumSgprs: 56
; NumVgprs: 22
; ScratchSize: 0
; MemoryBound: 0
; FloatMode: 240
; IeeeMode: 1
; LDSByteSize: 0 bytes/workgroup (compile time only)
; SGPRBlocks: 0
; VGPRBlocks: 1
; NumSGPRsForWavesPerEU: 56
; NumVGPRsForWavesPerEU: 22
; NamedBarCnt: 0
; Occupancy: 16
; WaveLimiterHint : 1
; COMPUTE_PGM_RSRC2:SCRATCH_EN: 0
; COMPUTE_PGM_RSRC2:USER_SGPR: 2
; COMPUTE_PGM_RSRC2:TRAP_HANDLER: 0
; COMPUTE_PGM_RSRC2:TGID_X_EN: 1
; COMPUTE_PGM_RSRC2:TGID_Y_EN: 1
; COMPUTE_PGM_RSRC2:TGID_Z_EN: 1
; COMPUTE_PGM_RSRC2:TIDIG_COMP_CNT: 1
	.section	.text._Z20gated_delta_net_cudaILi32ELb0ELb1EEvPKfS1_S1_S1_S1_S1_Pfllllllllllll15HIP_vector_typeIjLj3EES4_fi,"axG",@progbits,_Z20gated_delta_net_cudaILi32ELb0ELb1EEvPKfS1_S1_S1_S1_S1_Pfllllllllllll15HIP_vector_typeIjLj3EES4_fi,comdat
	.protected	_Z20gated_delta_net_cudaILi32ELb0ELb1EEvPKfS1_S1_S1_S1_S1_Pfllllllllllll15HIP_vector_typeIjLj3EES4_fi ; -- Begin function _Z20gated_delta_net_cudaILi32ELb0ELb1EEvPKfS1_S1_S1_S1_S1_Pfllllllllllll15HIP_vector_typeIjLj3EES4_fi
	.globl	_Z20gated_delta_net_cudaILi32ELb0ELb1EEvPKfS1_S1_S1_S1_S1_Pfllllllllllll15HIP_vector_typeIjLj3EES4_fi
	.p2align	8
	.type	_Z20gated_delta_net_cudaILi32ELb0ELb1EEvPKfS1_S1_S1_S1_S1_Pfllllllllllll15HIP_vector_typeIjLj3EES4_fi,@function
_Z20gated_delta_net_cudaILi32ELb0ELb1EEvPKfS1_S1_S1_S1_S1_Pfllllllllllll15HIP_vector_typeIjLj3EES4_fi: ; @_Z20gated_delta_net_cudaILi32ELb0ELb1EEvPKfS1_S1_S1_S1_S1_Pfllllllllllll15HIP_vector_typeIjLj3EES4_fi
; %bb.0:
	s_load_b512 s[4:19], s[0:1], 0x40
	s_wait_kmcnt 0x0
	v_cmp_lt_i64_e64 s2, s[4:5], 1
	s_and_b32 vcc_lo, exec_lo, s2
	s_cbranch_vccnz .LBB9_7
; %bb.1:
	s_bfe_u32 s2, ttmp6, 0x4000c
	s_load_u16 s3, s[0:1], 0xc6
	s_add_co_i32 s2, s2, 1
	s_and_b32 s20, ttmp6, 15
	s_mul_i32 s2, ttmp9, s2
	s_getreg_b32 s22, hwreg(HW_REG_IB_STS2, 6, 4)
	s_add_co_i32 s20, s20, s2
	s_cmp_eq_u32 s22, 0
	s_load_b512 s[36:51], s[0:1], 0x0
	s_cselect_b32 s28, ttmp9, s20
	s_bfe_u32 s2, ttmp6, 0x40014
	s_lshr_b32 s20, ttmp7, 16
	s_add_co_i32 s2, s2, 1
	s_bfe_u32 s21, ttmp6, 0x40008
	s_mul_i32 s2, s20, s2
	v_bfe_u32 v1, v0, 10, 10
	s_add_co_i32 s21, s21, s2
	s_cmp_eq_u32 s22, 0
	v_and_b32_e32 v16, 0x3ff, v0
	s_cselect_b32 s2, s20, s21
	s_and_b32 s20, ttmp7, 0xffff
	s_wait_kmcnt 0x0
	v_mad_u32 v2, s2, s3, v1
	s_bfe_u32 s2, ttmp6, 0x40010
	s_bfe_u32 s3, ttmp6, 0x40004
	s_add_co_i32 s2, s2, 1
	s_mov_b32 s21, 0
	s_mul_i32 s2, s20, s2
	s_mov_b32 s29, s21
	s_add_co_i32 s2, s3, s2
	s_cmp_eq_u32 s22, 0
	s_mov_b32 s3, s21
	s_cselect_b32 s20, s20, s2
	v_dual_lshlrev_b32 v4, 5, v2 :: v_dual_lshlrev_b32 v0, 2, v16
	s_mul_u64 s[30:31], s[50:51], s[20:21]
	s_lshl_b32 s2, s28, 10
	s_lshl_b64 s[22:23], s[30:31], 12
	s_delay_alu instid0(VALU_DEP_1)
	v_dual_ashrrev_i32 v5, 31, v4 :: v_dual_mov_b32 v1, 0
	s_lshl_b64 s[2:3], s[2:3], 2
	s_add_nc_u64 s[22:23], s[46:47], s[22:23]
	s_mul_u64 s[18:19], s[18:19], s[20:21]
	s_add_nc_u64 s[2:3], s[22:23], s[2:3]
	s_mul_u64 s[34:35], s[30:31], s[4:5]
	v_lshl_add_u64 v[6:7], v[4:5], 2, s[2:3]
	v_mbcnt_lo_u32_b32 v5, -1, 0
	s_mul_u64 s[6:7], s[50:51], s[6:7]
	s_lshl_b64 s[18:19], s[18:19], 2
	s_mul_u64 s[14:15], s[14:15], s[28:29]
	v_add_nc_u64_e32 v[6:7], v[6:7], v[0:1]
	v_xor_b32_e32 v8, 4, v5
	s_add_nc_u64 s[34:35], s[34:35], s[28:29]
	s_mul_u64 s[52:53], s[6:7], s[4:5]
	s_add_nc_u64 s[18:19], s[40:41], s[18:19]
	s_lshl_b64 s[14:15], s[14:15], 2
	s_lshl_b64 s[34:35], s[34:35], 7
	global_load_b32 v10, v[6:7], off
	s_wait_xcnt 0x0
	v_xor_b32_e32 v6, 8, v5
	v_xor_b32_e32 v3, 16, v5
	s_clause 0x3
	s_load_b128 s[24:27], s[0:1], 0x98
	s_load_b32 s33, s[0:1], 0xa8
	s_load_b64 s[22:23], s[0:1], 0xb0
	s_load_b64 s[46:47], s[0:1], 0x90
	s_wait_xcnt 0x0
	s_load_b128 s[0:3], s[0:1], 0x80
	s_add_nc_u64 s[30:31], s[30:31], s[28:29]
	s_lshl_b64 s[52:53], s[52:53], 7
	v_cmp_gt_i32_e32 vcc_lo, 32, v3
	s_add_nc_u64 s[14:15], s[18:19], s[14:15]
	s_add_nc_u64 s[52:53], s[48:49], s[52:53]
	s_lshl_b64 s[6:7], s[6:7], 10
	v_dual_cndmask_b32 v7, v5, v3 :: v_dual_add_nc_u32 v4, v4, v16
	v_cmp_gt_i32_e32 vcc_lo, 32, v6
	v_ashrrev_i32_e32 v3, 31, v2
	v_cndmask_b32_e32 v6, v5, v6, vcc_lo
	v_cmp_gt_i32_e32 vcc_lo, 32, v8
	v_xor_b32_e32 v9, 2, v5
	s_wait_kmcnt 0x0
	s_mul_hi_u32 s24, s24, s28
	v_dual_lshlrev_b32 v12, 2, v6 :: v_dual_bitop2_b32 v11, 1, v5 bitop3:0x14
	v_cndmask_b32_e32 v13, v5, v8, vcc_lo
	v_cmp_gt_i32_e32 vcc_lo, 32, v9
	s_add_co_i32 s24, s28, s24
	s_mul_hi_u32 s27, s27, s20
	s_lshr_b32 s24, s24, s25
	s_add_co_i32 s25, s20, s27
	v_cndmask_b32_e32 v14, v5, v9, vcc_lo
	v_cmp_gt_i32_e32 vcc_lo, 32, v11
	s_mul_i32 s26, s24, s26
	s_lshr_b32 s24, s25, s33
	s_sub_co_i32 s26, s28, s26
	s_mov_b32 s25, s21
	s_mov_b32 s27, s21
	v_lshlrev_b64_e32 v[8:9], 2, v[2:3]
	v_dual_cndmask_b32 v2, v5, v11, vcc_lo :: v_dual_lshlrev_b32 v14, 2, v14
	s_mul_u64 s[12:13], s[12:13], s[24:25]
	s_mul_u64 s[8:9], s[8:9], s[26:27]
	s_lshl_b64 s[12:13], s[12:13], 2
	s_lshl_b64 s[8:9], s[8:9], 2
	v_dual_lshlrev_b32 v15, 2, v2 :: v_dual_ashrrev_i32 v5, 31, v4
	s_add_nc_u64 s[8:9], s[12:13], s[8:9]
	v_dual_lshlrev_b32 v11, 2, v7 :: v_dual_lshlrev_b32 v13, 2, v13
	v_add_nc_u64_e32 v[2:3], s[14:15], v[8:9]
	s_lshl_b64 s[14:15], s[30:31], 12
	v_add_nc_u64_e32 v[6:7], s[8:9], v[0:1]
	s_lshl_b64 s[8:9], s[10:11], 2
	s_add_nc_u64 s[10:11], s[48:49], s[34:35]
	s_add_nc_u64 s[14:15], s[52:53], s[14:15]
	v_add_nc_u64_e32 v[8:9], s[10:11], v[8:9]
	s_mul_u64 s[18:19], s[46:47], s[20:21]
	s_mul_u64 s[28:29], s[0:1], s[28:29]
	v_cmp_eq_u32_e64 s0, 0, v16
	v_lshl_add_u64 v[4:5], v[4:5], 2, s[14:15]
	s_add_nc_u64 s[12:13], s[18:19], s[28:29]
	s_add_co_i32 s20, s4, -1
	s_lshl_b64 s[10:11], s[16:17], 2
	s_lshl_b64 s[12:13], s[12:13], 2
	;; [unrolled: 1-line block ×4, first 2 shown]
	s_mov_b64 s[16:17], 0
	s_branch .LBB9_3
.LBB9_2:                                ;   in Loop: Header=BB9_3 Depth=1
	s_add_nc_u64 s[16:17], s[16:17], 1
	v_add_nc_u64_e32 v[6:7], s[8:9], v[6:7]
	v_cmp_le_i64_e64 s1, s[4:5], s[16:17]
	v_add_nc_u64_e32 v[2:3], s[10:11], v[2:3]
	v_add_nc_u64_e32 v[8:9], s[14:15], v[8:9]
	s_add_co_i32 s20, s20, -1
	s_add_nc_u64 s[12:13], s[12:13], s[2:3]
	s_and_b32 vcc_lo, exec_lo, s1
	s_cbranch_vccnz .LBB9_7
.LBB9_3:                                ; =>This Inner Loop Header: Depth=1
	s_wait_dscnt 0x0
	s_wait_xcnt 0x0
	v_add_nc_u64_e32 v[16:17], s[38:39], v[6:7]
	s_add_nc_u64 s[18:19], s[42:43], s[12:13]
	global_load_b32 v0, v[16:17], off
	global_load_b32 v18, v1, s[18:19]
	global_load_b32 v19, v[2:3], off
	s_wait_xcnt 0x1
	s_add_nc_u64 s[18:19], s[44:45], s[12:13]
	v_add_nc_u64_e32 v[16:17], s[36:37], v[6:7]
	global_load_b32 v20, v1, s[18:19]
	global_load_b32 v16, v[16:17], off
	s_wait_loadcnt 0x3
	v_readfirstlane_b32 s1, v18
	s_wait_xcnt 0x0
	v_fma_f32 v17, v10, v0, 0
	v_cmp_ngt_f32_e32 vcc_lo, 0xc2ce8ed0, v18
	s_mul_f32 s1, s1, 0x3fb8aa3b
	ds_bpermute_b32 v21, v11, v17
	s_xor_b32 s18, s1, 0x80000000
	s_delay_alu instid0(SALU_CYCLE_1) | instskip(SKIP_1) | instid1(SALU_CYCLE_3)
	v_fma_f32 v22, 0x3fb8aa3b, v18, s18
	s_rndne_f32 s18, s1
	s_sub_f32 s1, s1, s18
	s_wait_dscnt 0x0
	s_delay_alu instid0(VALU_DEP_1)
	v_dual_fmac_f32 v22, 0x32a5705f, v18 :: v_dual_add_f32 v17, v17, v21
	ds_bpermute_b32 v21, v12, v17
	s_wait_dscnt 0x0
	v_add_f32_e32 v17, v17, v21
	ds_bpermute_b32 v21, v13, v17
	s_wait_dscnt 0x0
	v_add_f32_e32 v17, v17, v21
	ds_bpermute_b32 v21, v14, v17
	s_wait_dscnt 0x0
	v_dual_add_f32 v17, v17, v21 :: v_dual_add_f32 v21, s1, v22
	s_cvt_i32_f32 s1, s18
	s_delay_alu instid0(VALU_DEP_1)
	v_exp_f32_e32 v21, v21
	v_nop
	s_delay_alu instid0(TRANS32_DEP_1) | instid1(SALU_CYCLE_1)
	v_ldexp_f32 v21, v21, s1
	s_delay_alu instid0(VALU_DEP_1) | instskip(SKIP_1) | instid1(VALU_DEP_2)
	v_cndmask_b32_e32 v21, 0, v21, vcc_lo
	v_cmp_nlt_f32_e32 vcc_lo, 0x42b17218, v18
	v_cndmask_b32_e32 v18, 0x7f800000, v21, vcc_lo
	ds_bpermute_b32 v22, v15, v17
	v_mul_f32_e32 v10, v18, v10
	s_wait_dscnt 0x0
	v_add_f32_e32 v17, v17, v22
	s_wait_loadcnt 0x2
	s_delay_alu instid0(VALU_DEP_1) | instskip(SKIP_1) | instid1(VALU_DEP_1)
	v_fma_f32 v17, -v18, v17, v19
	s_wait_loadcnt 0x1
	v_mul_f32_e32 v17, v20, v17
	s_delay_alu instid0(VALU_DEP_1) | instskip(SKIP_1) | instid1(VALU_DEP_1)
	v_fmac_f32_e32 v10, v0, v17
	s_wait_loadcnt 0x0
	v_fma_f32 v0, v16, v10, 0
	ds_bpermute_b32 v16, v11, v0
	s_wait_dscnt 0x0
	v_add_f32_e32 v0, v0, v16
	ds_bpermute_b32 v16, v12, v0
	s_wait_dscnt 0x0
	v_add_f32_e32 v0, v0, v16
	;; [unrolled: 3-line block ×4, first 2 shown]
	ds_bpermute_b32 v16, v15, v0
	s_and_saveexec_b32 s1, s0
	s_cbranch_execz .LBB9_5
; %bb.4:                                ;   in Loop: Header=BB9_3 Depth=1
	s_wait_dscnt 0x0
	v_add_f32_e32 v0, v0, v16
	s_delay_alu instid0(VALU_DEP_1)
	v_mul_f32_e32 v0, s22, v0
	global_store_b32 v[8:9], v0, off
.LBB9_5:                                ;   in Loop: Header=BB9_3 Depth=1
	s_wait_xcnt 0x0
	s_or_b32 exec_lo, exec_lo, s1
	s_cmp_lt_i32 s20, 0
	s_cselect_b32 s1, -1, 0
	s_cmp_ge_i32 s20, s23
	s_cselect_b32 s18, -1, 0
	s_delay_alu instid0(SALU_CYCLE_1) | instskip(NEXT) | instid1(SALU_CYCLE_1)
	s_or_b32 s1, s1, s18
	s_and_b32 vcc_lo, exec_lo, s1
	s_cbranch_vccnz .LBB9_2
; %bb.6:                                ;   in Loop: Header=BB9_3 Depth=1
	s_mul_u64 s[18:19], s[6:7], s[20:21]
	s_wait_dscnt 0x0
	v_lshl_add_u64 v[16:17], s[18:19], 2, v[4:5]
	global_store_b32 v[16:17], v10, off
	s_branch .LBB9_2
.LBB9_7:
	s_endpgm
	.section	.rodata,"a",@progbits
	.p2align	6, 0x0
	.amdhsa_kernel _Z20gated_delta_net_cudaILi32ELb0ELb1EEvPKfS1_S1_S1_S1_S1_Pfllllllllllll15HIP_vector_typeIjLj3EES4_fi
		.amdhsa_group_segment_fixed_size 0
		.amdhsa_private_segment_fixed_size 0
		.amdhsa_kernarg_size 440
		.amdhsa_user_sgpr_count 2
		.amdhsa_user_sgpr_dispatch_ptr 0
		.amdhsa_user_sgpr_queue_ptr 0
		.amdhsa_user_sgpr_kernarg_segment_ptr 1
		.amdhsa_user_sgpr_dispatch_id 0
		.amdhsa_user_sgpr_kernarg_preload_length 0
		.amdhsa_user_sgpr_kernarg_preload_offset 0
		.amdhsa_user_sgpr_private_segment_size 0
		.amdhsa_wavefront_size32 1
		.amdhsa_uses_dynamic_stack 0
		.amdhsa_enable_private_segment 0
		.amdhsa_system_sgpr_workgroup_id_x 1
		.amdhsa_system_sgpr_workgroup_id_y 1
		.amdhsa_system_sgpr_workgroup_id_z 1
		.amdhsa_system_sgpr_workgroup_info 0
		.amdhsa_system_vgpr_workitem_id 1
		.amdhsa_next_free_vgpr 23
		.amdhsa_next_free_sgpr 54
		.amdhsa_named_barrier_count 0
		.amdhsa_reserve_vcc 1
		.amdhsa_float_round_mode_32 0
		.amdhsa_float_round_mode_16_64 0
		.amdhsa_float_denorm_mode_32 3
		.amdhsa_float_denorm_mode_16_64 3
		.amdhsa_fp16_overflow 0
		.amdhsa_memory_ordered 1
		.amdhsa_forward_progress 1
		.amdhsa_inst_pref_size 10
		.amdhsa_round_robin_scheduling 0
		.amdhsa_exception_fp_ieee_invalid_op 0
		.amdhsa_exception_fp_denorm_src 0
		.amdhsa_exception_fp_ieee_div_zero 0
		.amdhsa_exception_fp_ieee_overflow 0
		.amdhsa_exception_fp_ieee_underflow 0
		.amdhsa_exception_fp_ieee_inexact 0
		.amdhsa_exception_int_div_zero 0
	.end_amdhsa_kernel
	.section	.text._Z20gated_delta_net_cudaILi32ELb0ELb1EEvPKfS1_S1_S1_S1_S1_Pfllllllllllll15HIP_vector_typeIjLj3EES4_fi,"axG",@progbits,_Z20gated_delta_net_cudaILi32ELb0ELb1EEvPKfS1_S1_S1_S1_S1_Pfllllllllllll15HIP_vector_typeIjLj3EES4_fi,comdat
.Lfunc_end9:
	.size	_Z20gated_delta_net_cudaILi32ELb0ELb1EEvPKfS1_S1_S1_S1_S1_Pfllllllllllll15HIP_vector_typeIjLj3EES4_fi, .Lfunc_end9-_Z20gated_delta_net_cudaILi32ELb0ELb1EEvPKfS1_S1_S1_S1_S1_Pfllllllllllll15HIP_vector_typeIjLj3EES4_fi
                                        ; -- End function
	.set _Z20gated_delta_net_cudaILi32ELb0ELb1EEvPKfS1_S1_S1_S1_S1_Pfllllllllllll15HIP_vector_typeIjLj3EES4_fi.num_vgpr, 23
	.set _Z20gated_delta_net_cudaILi32ELb0ELb1EEvPKfS1_S1_S1_S1_S1_Pfllllllllllll15HIP_vector_typeIjLj3EES4_fi.num_agpr, 0
	.set _Z20gated_delta_net_cudaILi32ELb0ELb1EEvPKfS1_S1_S1_S1_S1_Pfllllllllllll15HIP_vector_typeIjLj3EES4_fi.numbered_sgpr, 54
	.set _Z20gated_delta_net_cudaILi32ELb0ELb1EEvPKfS1_S1_S1_S1_S1_Pfllllllllllll15HIP_vector_typeIjLj3EES4_fi.num_named_barrier, 0
	.set _Z20gated_delta_net_cudaILi32ELb0ELb1EEvPKfS1_S1_S1_S1_S1_Pfllllllllllll15HIP_vector_typeIjLj3EES4_fi.private_seg_size, 0
	.set _Z20gated_delta_net_cudaILi32ELb0ELb1EEvPKfS1_S1_S1_S1_S1_Pfllllllllllll15HIP_vector_typeIjLj3EES4_fi.uses_vcc, 1
	.set _Z20gated_delta_net_cudaILi32ELb0ELb1EEvPKfS1_S1_S1_S1_S1_Pfllllllllllll15HIP_vector_typeIjLj3EES4_fi.uses_flat_scratch, 0
	.set _Z20gated_delta_net_cudaILi32ELb0ELb1EEvPKfS1_S1_S1_S1_S1_Pfllllllllllll15HIP_vector_typeIjLj3EES4_fi.has_dyn_sized_stack, 0
	.set _Z20gated_delta_net_cudaILi32ELb0ELb1EEvPKfS1_S1_S1_S1_S1_Pfllllllllllll15HIP_vector_typeIjLj3EES4_fi.has_recursion, 0
	.set _Z20gated_delta_net_cudaILi32ELb0ELb1EEvPKfS1_S1_S1_S1_S1_Pfllllllllllll15HIP_vector_typeIjLj3EES4_fi.has_indirect_call, 0
	.section	.AMDGPU.csdata,"",@progbits
; Kernel info:
; codeLenInByte = 1240
; TotalNumSgprs: 56
; NumVgprs: 23
; ScratchSize: 0
; MemoryBound: 0
; FloatMode: 240
; IeeeMode: 1
; LDSByteSize: 0 bytes/workgroup (compile time only)
; SGPRBlocks: 0
; VGPRBlocks: 1
; NumSGPRsForWavesPerEU: 56
; NumVGPRsForWavesPerEU: 23
; NamedBarCnt: 0
; Occupancy: 16
; WaveLimiterHint : 1
; COMPUTE_PGM_RSRC2:SCRATCH_EN: 0
; COMPUTE_PGM_RSRC2:USER_SGPR: 2
; COMPUTE_PGM_RSRC2:TRAP_HANDLER: 0
; COMPUTE_PGM_RSRC2:TGID_X_EN: 1
; COMPUTE_PGM_RSRC2:TGID_Y_EN: 1
; COMPUTE_PGM_RSRC2:TGID_Z_EN: 1
; COMPUTE_PGM_RSRC2:TIDIG_COMP_CNT: 1
	.section	.text._Z20gated_delta_net_cudaILi64ELb0ELb1EEvPKfS1_S1_S1_S1_S1_Pfllllllllllll15HIP_vector_typeIjLj3EES4_fi,"axG",@progbits,_Z20gated_delta_net_cudaILi64ELb0ELb1EEvPKfS1_S1_S1_S1_S1_Pfllllllllllll15HIP_vector_typeIjLj3EES4_fi,comdat
	.protected	_Z20gated_delta_net_cudaILi64ELb0ELb1EEvPKfS1_S1_S1_S1_S1_Pfllllllllllll15HIP_vector_typeIjLj3EES4_fi ; -- Begin function _Z20gated_delta_net_cudaILi64ELb0ELb1EEvPKfS1_S1_S1_S1_S1_Pfllllllllllll15HIP_vector_typeIjLj3EES4_fi
	.globl	_Z20gated_delta_net_cudaILi64ELb0ELb1EEvPKfS1_S1_S1_S1_S1_Pfllllllllllll15HIP_vector_typeIjLj3EES4_fi
	.p2align	8
	.type	_Z20gated_delta_net_cudaILi64ELb0ELb1EEvPKfS1_S1_S1_S1_S1_Pfllllllllllll15HIP_vector_typeIjLj3EES4_fi,@function
_Z20gated_delta_net_cudaILi64ELb0ELb1EEvPKfS1_S1_S1_S1_S1_Pfllllllllllll15HIP_vector_typeIjLj3EES4_fi: ; @_Z20gated_delta_net_cudaILi64ELb0ELb1EEvPKfS1_S1_S1_S1_S1_Pfllllllllllll15HIP_vector_typeIjLj3EES4_fi
; %bb.0:
	s_load_b512 s[4:19], s[0:1], 0x40
	s_wait_kmcnt 0x0
	v_cmp_lt_i64_e64 s2, s[4:5], 1
	s_and_b32 vcc_lo, exec_lo, s2
	s_cbranch_vccnz .LBB10_7
; %bb.1:
	s_clause 0x1
	s_load_u16 s21, s[0:1], 0xc6
	s_load_b512 s[36:51], s[0:1], 0x0
	s_bfe_u32 s2, ttmp6, 0x40014
	s_lshr_b32 s3, ttmp7, 16
	s_add_co_i32 s2, s2, 1
	s_bfe_u32 s20, ttmp6, 0x40008
	s_mul_i32 s2, s3, s2
	s_bfe_u32 s23, ttmp6, 0x40010
	s_add_co_i32 s20, s20, s2
	s_bfe_u32 s2, ttmp6, 0x4000c
	s_and_b32 s24, ttmp7, 0xffff
	s_add_co_i32 s2, s2, 1
	s_add_co_i32 s23, s23, 1
	s_and_b32 s22, ttmp6, 15
	s_mul_i32 s2, ttmp9, s2
	s_mul_i32 s23, s24, s23
	s_bfe_u32 s25, ttmp6, 0x40004
	s_add_co_i32 s22, s22, s2
	s_getreg_b32 s2, hwreg(HW_REG_IB_STS2, 6, 4)
	s_add_co_i32 s25, s25, s23
	v_bfe_u32 v1, v0, 10, 10
	s_cmp_eq_u32 s2, 0
	v_and_b32_e32 v15, 0x3ff, v0
	s_cselect_b32 s2, s3, s20
	s_mov_b32 s3, 0
	s_wait_kmcnt 0x0
	v_mad_u32 v4, s2, s21, v1
	s_cselect_b32 s2, s24, s25
	s_cselect_b32 s26, ttmp9, s22
	s_mul_u64 s[34:35], s[50:51], s[2:3]
	s_mov_b32 s21, s3
	s_lshl_b32 s20, s26, 12
	s_lshl_b64 s[22:23], s[34:35], 14
	v_mov_b32_e32 v1, 0
	s_lshl_b64 s[20:21], s[20:21], 2
	s_add_nc_u64 s[22:23], s[46:47], s[22:23]
	s_mul_u64 s[6:7], s[50:51], s[6:7]
	v_lshlrev_b32_e32 v6, 6, v4
	s_add_nc_u64 s[20:21], s[22:23], s[20:21]
	v_lshlrev_b32_e32 v0, 2, v15
	s_mov_b32 s27, s3
	s_mul_u64 s[52:53], s[6:7], s[4:5]
	v_ashrrev_i32_e32 v7, 31, v6
	s_mul_u64 s[14:15], s[14:15], s[26:27]
	s_lshl_b64 s[6:7], s[6:7], 12
	s_lshl_b64 s[14:15], s[14:15], 2
	;; [unrolled: 1-line block ×3, first 2 shown]
	v_lshl_add_u64 v[2:3], v[6:7], 2, s[20:21]
	v_mbcnt_lo_u32_b32 v7, -1, 0
	s_lshl_b64 s[16:17], s[16:17], 2
	v_add_nc_u32_e32 v6, v6, v15
	s_delay_alu instid0(VALU_DEP_3)
	v_add_nc_u64_e32 v[8:9], v[2:3], v[0:1]
	s_clause 0x1
	global_load_b32 v2, v[8:9], off
	global_load_b32 v3, v[8:9], off offset:128
	s_wait_xcnt 0x0
	v_xor_b32_e32 v8, 8, v7
	v_xor_b32_e32 v5, 16, v7
	s_clause 0x4
	s_load_b128 s[28:31], s[0:1], 0x98
	s_load_b32 s33, s[0:1], 0xa8
	s_load_b64 s[24:25], s[0:1], 0xb0
	s_load_b64 s[46:47], s[0:1], 0x90
	s_load_b128 s[20:23], s[0:1], 0x80
	v_xor_b32_e32 v9, 4, v7
	s_wait_xcnt 0x0
	s_mul_u64 s[0:1], s[34:35], s[4:5]
	s_add_nc_u64 s[34:35], s[34:35], s[26:27]
	v_cmp_gt_i32_e32 vcc_lo, 32, v5
	s_add_nc_u64 s[0:1], s[0:1], s[26:27]
	s_delay_alu instid0(SALU_CYCLE_1) | instskip(SKIP_3) | instid1(VALU_DEP_1)
	s_lshl_b64 s[54:55], s[0:1], 8
	s_lshl_b64 s[0:1], s[52:53], 8
	v_cndmask_b32_e32 v5, v7, v5, vcc_lo
	s_add_nc_u64 s[52:53], s[48:49], s[0:1]
	v_lshlrev_b32_e32 v10, 2, v5
	v_cmp_gt_i32_e32 vcc_lo, 32, v8
	v_ashrrev_i32_e32 v5, 31, v4
	s_wait_kmcnt 0x0
	s_mul_hi_u32 s28, s28, s26
	s_mul_hi_u32 s31, s31, s2
	s_add_co_i32 s0, s26, s28
	v_dual_cndmask_b32 v11, v7, v8, vcc_lo :: v_dual_bitop2_b32 v8, 2, v7 bitop3:0x14
	v_cmp_gt_i32_e32 vcc_lo, 32, v9
	v_xor_b32_e32 v12, 1, v7
	s_lshr_b32 s0, s0, s29
	s_add_co_i32 s1, s2, s31
	s_mul_i32 s0, s0, s30
	v_cndmask_b32_e32 v13, v7, v9, vcc_lo
	v_cmp_gt_i32_e32 vcc_lo, 32, v8
	s_lshr_b32 s28, s1, s33
	s_sub_co_i32 s30, s26, s0
	s_mul_u64 s[0:1], s[18:19], s[2:3]
	v_dual_cndmask_b32 v14, v7, v8 :: v_dual_lshlrev_b32 v11, 2, v11
	v_cmp_gt_i32_e32 vcc_lo, 32, v12
	v_lshlrev_b64_e32 v[8:9], 2, v[4:5]
	s_lshl_b64 s[0:1], s[0:1], 2
	s_mul_u64 s[18:19], s[20:21], s[26:27]
	s_lshl_b64 s[20:21], s[34:35], 14
	v_dual_cndmask_b32 v4, v7, v12, vcc_lo :: v_dual_lshlrev_b32 v12, 2, v13
	v_lshlrev_b32_e32 v13, 2, v14
	v_ashrrev_i32_e32 v7, 31, v6
	s_mov_b32 s29, s3
	s_delay_alu instid0(VALU_DEP_3)
	v_lshlrev_b32_e32 v14, 2, v4
	s_mov_b32 s31, s3
	s_add_nc_u64 s[0:1], s[40:41], s[0:1]
	s_add_nc_u64 s[20:21], s[52:53], s[20:21]
	s_mul_u64 s[12:13], s[12:13], s[28:29]
	s_mul_u64 s[8:9], s[8:9], s[30:31]
	s_add_nc_u64 s[0:1], s[0:1], s[14:15]
	v_lshl_add_u64 v[6:7], v[6:7], 2, s[20:21]
	s_add_nc_u64 s[20:21], s[48:49], s[54:55]
	s_lshl_b64 s[12:13], s[12:13], 2
	s_lshl_b64 s[8:9], s[8:9], 2
	v_add_nc_u64_e32 v[4:5], s[0:1], v[8:9]
	v_add_nc_u64_e32 v[8:9], s[20:21], v[8:9]
	s_mul_u64 s[14:15], s[46:47], s[2:3]
	s_add_nc_u64 s[8:9], s[12:13], s[8:9]
	v_cmp_eq_u32_e64 s0, 0, v15
	s_add_nc_u64 s[20:21], s[8:9], 0x80
	s_add_nc_u64 s[14:15], s[14:15], s[18:19]
	s_add_co_i32 s2, s4, -1
	s_lshl_b64 s[8:9], s[50:51], 8
	s_add_nc_u64 s[12:13], s[36:37], s[20:21]
	s_lshl_b64 s[14:15], s[14:15], 2
	s_lshl_b64 s[18:19], s[22:23], 2
	s_add_nc_u64 s[20:21], s[38:39], s[20:21]
	s_mov_b64 s[22:23], 0
	s_branch .LBB10_3
.LBB10_2:                               ;   in Loop: Header=BB10_3 Depth=1
	s_add_nc_u64 s[22:23], s[22:23], 1
	v_add_nc_u64_e32 v[8:9], s[8:9], v[8:9]
	v_cmp_le_i64_e64 s1, s[4:5], s[22:23]
	v_add_nc_u64_e32 v[4:5], s[16:17], v[4:5]
	s_add_co_i32 s2, s2, -1
	s_add_nc_u64 s[12:13], s[12:13], s[10:11]
	s_add_nc_u64 s[14:15], s[14:15], s[18:19]
	;; [unrolled: 1-line block ×3, first 2 shown]
	s_and_b32 vcc_lo, exec_lo, s1
	s_cbranch_vccnz .LBB10_7
.LBB10_3:                               ; =>This Inner Loop Header: Depth=1
	s_wait_dscnt 0x0
	s_wait_xcnt 0x0
	v_add_nc_u64_e32 v[16:17], s[20:21], v[0:1]
	s_add_nc_u64 s[26:27], s[42:43], s[14:15]
	s_clause 0x1
	global_load_b32 v18, v[16:17], off offset:-128
	global_load_b32 v19, v[16:17], off
	global_load_b32 v15, v1, s[26:27]
	global_load_b32 v20, v[4:5], off
	s_wait_xcnt 0x1
	s_add_nc_u64 s[26:27], s[44:45], s[14:15]
	v_add_nc_u64_e32 v[16:17], s[12:13], v[0:1]
	global_load_b32 v21, v1, s[26:27]
	s_clause 0x1
	global_load_b32 v22, v[16:17], off offset:-128
	global_load_b32 v23, v[16:17], off
	s_wait_loadcnt 0x4
	v_readfirstlane_b32 s1, v15
	s_wait_xcnt 0x0
	v_pk_mul_f32 v[16:17], v[2:3], v[18:19]
	v_cmp_ngt_f32_e32 vcc_lo, 0xc2ce8ed0, v15
	s_mul_f32 s1, s1, 0x3fb8aa3b
	s_delay_alu instid0(VALU_DEP_2) | instskip(NEXT) | instid1(SALU_CYCLE_2)
	v_add_f32_e32 v16, 0, v16
	s_xor_b32 s26, s1, 0x80000000
	s_delay_alu instid0(VALU_DEP_1)
	v_add_f32_e32 v16, v16, v17
	v_fma_f32 v24, 0x3fb8aa3b, v15, s26
	s_rndne_f32 s26, s1
	ds_bpermute_b32 v17, v10, v16
	s_sub_f32 s1, s1, s26
	s_wait_dscnt 0x0
	v_add_f32_e32 v16, v16, v17
	ds_bpermute_b32 v17, v11, v16
	s_wait_dscnt 0x0
	v_add_f32_e32 v16, v16, v17
	ds_bpermute_b32 v17, v12, v16
	;; [unrolled: 3-line block ×3, first 2 shown]
	s_wait_dscnt 0x0
	v_dual_fmac_f32 v24, 0x32a5705f, v15 :: v_dual_add_f32 v17, v16, v17
	s_delay_alu instid0(VALU_DEP_1) | instskip(SKIP_4) | instid1(TRANS32_DEP_1)
	v_add_f32_e32 v16, s1, v24
	s_cvt_i32_f32 s1, s26
	ds_bpermute_b32 v24, v14, v17
	v_exp_f32_e32 v16, v16
	v_nop
	v_ldexp_f32 v16, v16, s1
	s_delay_alu instid0(VALU_DEP_1) | instskip(SKIP_1) | instid1(VALU_DEP_2)
	v_cndmask_b32_e32 v16, 0, v16, vcc_lo
	v_cmp_nlt_f32_e32 vcc_lo, 0x42b17218, v15
	v_cndmask_b32_e32 v16, 0x7f800000, v16, vcc_lo
	s_wait_dscnt 0x0
	s_delay_alu instid0(VALU_DEP_1) | instskip(SKIP_1) | instid1(VALU_DEP_1)
	v_dual_add_f32 v15, v17, v24 :: v_dual_mul_f32 v2, v16, v2
	s_wait_loadcnt 0x3
	v_fma_f32 v15, -v16, v15, v20
	s_wait_loadcnt 0x2
	s_delay_alu instid0(VALU_DEP_1) | instskip(NEXT) | instid1(VALU_DEP_1)
	v_mul_f32_e32 v17, v21, v15
	v_dual_mul_f32 v20, v17, v18 :: v_dual_mov_b32 v18, v3
	s_delay_alu instid0(VALU_DEP_1) | instskip(NEXT) | instid1(VALU_DEP_1)
	v_pk_mul_f32 v[18:19], v[16:17], v[18:19]
	v_dual_mov_b32 v3, v18 :: v_dual_mov_b32 v21, v19
	s_delay_alu instid0(VALU_DEP_1) | instskip(SKIP_1) | instid1(VALU_DEP_1)
	v_pk_add_f32 v[2:3], v[2:3], v[20:21]
	s_wait_loadcnt 0x1
	v_fma_f32 v15, v22, v2, 0
	s_wait_loadcnt 0x0
	s_delay_alu instid0(VALU_DEP_1)
	v_fmac_f32_e32 v15, v23, v3
	ds_bpermute_b32 v16, v10, v15
	s_wait_dscnt 0x0
	v_add_f32_e32 v15, v15, v16
	ds_bpermute_b32 v16, v11, v15
	s_wait_dscnt 0x0
	v_add_f32_e32 v15, v15, v16
	;; [unrolled: 3-line block ×4, first 2 shown]
	ds_bpermute_b32 v16, v14, v15
	s_and_saveexec_b32 s1, s0
	s_cbranch_execz .LBB10_5
; %bb.4:                                ;   in Loop: Header=BB10_3 Depth=1
	s_wait_dscnt 0x0
	v_add_f32_e32 v15, v15, v16
	s_delay_alu instid0(VALU_DEP_1)
	v_mul_f32_e32 v15, s24, v15
	global_store_b32 v[8:9], v15, off
.LBB10_5:                               ;   in Loop: Header=BB10_3 Depth=1
	s_wait_xcnt 0x0
	s_or_b32 exec_lo, exec_lo, s1
	s_cmp_lt_i32 s2, 0
	s_cselect_b32 s1, -1, 0
	s_cmp_ge_i32 s2, s25
	s_cselect_b32 s26, -1, 0
	s_delay_alu instid0(SALU_CYCLE_1) | instskip(NEXT) | instid1(SALU_CYCLE_1)
	s_or_b32 s1, s1, s26
	s_and_b32 vcc_lo, exec_lo, s1
	s_cbranch_vccnz .LBB10_2
; %bb.6:                                ;   in Loop: Header=BB10_3 Depth=1
	s_mul_u64 s[26:27], s[6:7], s[2:3]
	s_wait_dscnt 0x0
	v_lshl_add_u64 v[16:17], s[26:27], 2, v[6:7]
	s_clause 0x1
	global_store_b32 v[16:17], v2, off
	global_store_b32 v[16:17], v3, off offset:128
	s_branch .LBB10_2
.LBB10_7:
	s_endpgm
	.section	.rodata,"a",@progbits
	.p2align	6, 0x0
	.amdhsa_kernel _Z20gated_delta_net_cudaILi64ELb0ELb1EEvPKfS1_S1_S1_S1_S1_Pfllllllllllll15HIP_vector_typeIjLj3EES4_fi
		.amdhsa_group_segment_fixed_size 0
		.amdhsa_private_segment_fixed_size 0
		.amdhsa_kernarg_size 440
		.amdhsa_user_sgpr_count 2
		.amdhsa_user_sgpr_dispatch_ptr 0
		.amdhsa_user_sgpr_queue_ptr 0
		.amdhsa_user_sgpr_kernarg_segment_ptr 1
		.amdhsa_user_sgpr_dispatch_id 0
		.amdhsa_user_sgpr_kernarg_preload_length 0
		.amdhsa_user_sgpr_kernarg_preload_offset 0
		.amdhsa_user_sgpr_private_segment_size 0
		.amdhsa_wavefront_size32 1
		.amdhsa_uses_dynamic_stack 0
		.amdhsa_enable_private_segment 0
		.amdhsa_system_sgpr_workgroup_id_x 1
		.amdhsa_system_sgpr_workgroup_id_y 1
		.amdhsa_system_sgpr_workgroup_id_z 1
		.amdhsa_system_sgpr_workgroup_info 0
		.amdhsa_system_vgpr_workitem_id 1
		.amdhsa_next_free_vgpr 25
		.amdhsa_next_free_sgpr 56
		.amdhsa_named_barrier_count 0
		.amdhsa_reserve_vcc 1
		.amdhsa_float_round_mode_32 0
		.amdhsa_float_round_mode_16_64 0
		.amdhsa_float_denorm_mode_32 3
		.amdhsa_float_denorm_mode_16_64 3
		.amdhsa_fp16_overflow 0
		.amdhsa_memory_ordered 1
		.amdhsa_forward_progress 1
		.amdhsa_inst_pref_size 11
		.amdhsa_round_robin_scheduling 0
		.amdhsa_exception_fp_ieee_invalid_op 0
		.amdhsa_exception_fp_denorm_src 0
		.amdhsa_exception_fp_ieee_div_zero 0
		.amdhsa_exception_fp_ieee_overflow 0
		.amdhsa_exception_fp_ieee_underflow 0
		.amdhsa_exception_fp_ieee_inexact 0
		.amdhsa_exception_int_div_zero 0
	.end_amdhsa_kernel
	.section	.text._Z20gated_delta_net_cudaILi64ELb0ELb1EEvPKfS1_S1_S1_S1_S1_Pfllllllllllll15HIP_vector_typeIjLj3EES4_fi,"axG",@progbits,_Z20gated_delta_net_cudaILi64ELb0ELb1EEvPKfS1_S1_S1_S1_S1_Pfllllllllllll15HIP_vector_typeIjLj3EES4_fi,comdat
.Lfunc_end10:
	.size	_Z20gated_delta_net_cudaILi64ELb0ELb1EEvPKfS1_S1_S1_S1_S1_Pfllllllllllll15HIP_vector_typeIjLj3EES4_fi, .Lfunc_end10-_Z20gated_delta_net_cudaILi64ELb0ELb1EEvPKfS1_S1_S1_S1_S1_Pfllllllllllll15HIP_vector_typeIjLj3EES4_fi
                                        ; -- End function
	.set _Z20gated_delta_net_cudaILi64ELb0ELb1EEvPKfS1_S1_S1_S1_S1_Pfllllllllllll15HIP_vector_typeIjLj3EES4_fi.num_vgpr, 25
	.set _Z20gated_delta_net_cudaILi64ELb0ELb1EEvPKfS1_S1_S1_S1_S1_Pfllllllllllll15HIP_vector_typeIjLj3EES4_fi.num_agpr, 0
	.set _Z20gated_delta_net_cudaILi64ELb0ELb1EEvPKfS1_S1_S1_S1_S1_Pfllllllllllll15HIP_vector_typeIjLj3EES4_fi.numbered_sgpr, 56
	.set _Z20gated_delta_net_cudaILi64ELb0ELb1EEvPKfS1_S1_S1_S1_S1_Pfllllllllllll15HIP_vector_typeIjLj3EES4_fi.num_named_barrier, 0
	.set _Z20gated_delta_net_cudaILi64ELb0ELb1EEvPKfS1_S1_S1_S1_S1_Pfllllllllllll15HIP_vector_typeIjLj3EES4_fi.private_seg_size, 0
	.set _Z20gated_delta_net_cudaILi64ELb0ELb1EEvPKfS1_S1_S1_S1_S1_Pfllllllllllll15HIP_vector_typeIjLj3EES4_fi.uses_vcc, 1
	.set _Z20gated_delta_net_cudaILi64ELb0ELb1EEvPKfS1_S1_S1_S1_S1_Pfllllllllllll15HIP_vector_typeIjLj3EES4_fi.uses_flat_scratch, 0
	.set _Z20gated_delta_net_cudaILi64ELb0ELb1EEvPKfS1_S1_S1_S1_S1_Pfllllllllllll15HIP_vector_typeIjLj3EES4_fi.has_dyn_sized_stack, 0
	.set _Z20gated_delta_net_cudaILi64ELb0ELb1EEvPKfS1_S1_S1_S1_S1_Pfllllllllllll15HIP_vector_typeIjLj3EES4_fi.has_recursion, 0
	.set _Z20gated_delta_net_cudaILi64ELb0ELb1EEvPKfS1_S1_S1_S1_S1_Pfllllllllllll15HIP_vector_typeIjLj3EES4_fi.has_indirect_call, 0
	.section	.AMDGPU.csdata,"",@progbits
; Kernel info:
; codeLenInByte = 1364
; TotalNumSgprs: 58
; NumVgprs: 25
; ScratchSize: 0
; MemoryBound: 0
; FloatMode: 240
; IeeeMode: 1
; LDSByteSize: 0 bytes/workgroup (compile time only)
; SGPRBlocks: 0
; VGPRBlocks: 1
; NumSGPRsForWavesPerEU: 58
; NumVGPRsForWavesPerEU: 25
; NamedBarCnt: 0
; Occupancy: 16
; WaveLimiterHint : 1
; COMPUTE_PGM_RSRC2:SCRATCH_EN: 0
; COMPUTE_PGM_RSRC2:USER_SGPR: 2
; COMPUTE_PGM_RSRC2:TRAP_HANDLER: 0
; COMPUTE_PGM_RSRC2:TGID_X_EN: 1
; COMPUTE_PGM_RSRC2:TGID_Y_EN: 1
; COMPUTE_PGM_RSRC2:TGID_Z_EN: 1
; COMPUTE_PGM_RSRC2:TIDIG_COMP_CNT: 1
	.section	.text._Z20gated_delta_net_cudaILi128ELb0ELb1EEvPKfS1_S1_S1_S1_S1_Pfllllllllllll15HIP_vector_typeIjLj3EES4_fi,"axG",@progbits,_Z20gated_delta_net_cudaILi128ELb0ELb1EEvPKfS1_S1_S1_S1_S1_Pfllllllllllll15HIP_vector_typeIjLj3EES4_fi,comdat
	.protected	_Z20gated_delta_net_cudaILi128ELb0ELb1EEvPKfS1_S1_S1_S1_S1_Pfllllllllllll15HIP_vector_typeIjLj3EES4_fi ; -- Begin function _Z20gated_delta_net_cudaILi128ELb0ELb1EEvPKfS1_S1_S1_S1_S1_Pfllllllllllll15HIP_vector_typeIjLj3EES4_fi
	.globl	_Z20gated_delta_net_cudaILi128ELb0ELb1EEvPKfS1_S1_S1_S1_S1_Pfllllllllllll15HIP_vector_typeIjLj3EES4_fi
	.p2align	8
	.type	_Z20gated_delta_net_cudaILi128ELb0ELb1EEvPKfS1_S1_S1_S1_S1_Pfllllllllllll15HIP_vector_typeIjLj3EES4_fi,@function
_Z20gated_delta_net_cudaILi128ELb0ELb1EEvPKfS1_S1_S1_S1_S1_Pfllllllllllll15HIP_vector_typeIjLj3EES4_fi: ; @_Z20gated_delta_net_cudaILi128ELb0ELb1EEvPKfS1_S1_S1_S1_S1_Pfllllllllllll15HIP_vector_typeIjLj3EES4_fi
; %bb.0:
	s_load_b512 s[4:19], s[0:1], 0x40
	s_wait_kmcnt 0x0
	v_cmp_lt_i64_e64 s2, s[4:5], 1
	s_and_b32 vcc_lo, exec_lo, s2
	s_cbranch_vccnz .LBB11_7
; %bb.1:
	s_clause 0x1
	s_load_u16 s21, s[0:1], 0xc6
	s_load_b512 s[36:51], s[0:1], 0x0
	s_bfe_u32 s2, ttmp6, 0x40014
	s_lshr_b32 s3, ttmp7, 16
	s_add_co_i32 s2, s2, 1
	s_bfe_u32 s20, ttmp6, 0x40008
	s_mul_i32 s2, s3, s2
	s_bfe_u32 s23, ttmp6, 0x40010
	s_add_co_i32 s20, s20, s2
	s_bfe_u32 s2, ttmp6, 0x4000c
	s_and_b32 s24, ttmp7, 0xffff
	s_add_co_i32 s2, s2, 1
	s_add_co_i32 s23, s23, 1
	s_and_b32 s22, ttmp6, 15
	s_mul_i32 s2, ttmp9, s2
	s_mul_i32 s23, s24, s23
	s_bfe_u32 s25, ttmp6, 0x40004
	s_add_co_i32 s22, s22, s2
	s_getreg_b32 s2, hwreg(HW_REG_IB_STS2, 6, 4)
	s_add_co_i32 s25, s25, s23
	v_bfe_u32 v1, v0, 10, 10
	s_cmp_eq_u32 s2, 0
	v_and_b32_e32 v17, 0x3ff, v0
	s_cselect_b32 s2, s3, s20
	s_mov_b32 s3, 0
	s_wait_kmcnt 0x0
	v_mad_u32 v6, s2, s21, v1
	s_cselect_b32 s2, s24, s25
	s_cselect_b32 s26, ttmp9, s22
	s_mul_u64 s[34:35], s[50:51], s[2:3]
	s_mov_b32 s21, s3
	s_lshl_b32 s20, s26, 14
	s_lshl_b64 s[22:23], s[34:35], 16
	v_mov_b32_e32 v1, 0
	s_lshl_b64 s[20:21], s[20:21], 2
	s_add_nc_u64 s[22:23], s[46:47], s[22:23]
	s_mul_u64 s[52:53], s[50:51], s[6:7]
	v_lshlrev_b32_e32 v8, 7, v6
	s_add_nc_u64 s[20:21], s[22:23], s[20:21]
	v_lshlrev_b32_e32 v0, 2, v17
	s_mov_b32 s27, s3
	s_mul_u64 s[6:7], s[52:53], s[4:5]
	v_ashrrev_i32_e32 v9, 31, v8
	s_lshl_b64 s[10:11], s[10:11], 2
	s_lshl_b64 s[16:17], s[16:17], 2
	s_delay_alu instid0(VALU_DEP_1) | instskip(SKIP_2) | instid1(VALU_DEP_3)
	v_lshl_add_u64 v[2:3], v[8:9], 2, s[20:21]
	v_mbcnt_lo_u32_b32 v9, -1, 0
	v_or_b32_e32 v8, v8, v17
	v_add_nc_u64_e32 v[10:11], v[2:3], v[0:1]
	s_clause 0x3
	global_load_b32 v2, v[10:11], off
	global_load_b32 v3, v[10:11], off offset:128
	global_load_b32 v4, v[10:11], off offset:256
	;; [unrolled: 1-line block ×3, first 2 shown]
	s_wait_xcnt 0x0
	v_xor_b32_e32 v10, 8, v9
	v_xor_b32_e32 v7, 16, v9
	s_clause 0x4
	s_load_b128 s[28:31], s[0:1], 0x98
	s_load_b32 s33, s[0:1], 0xa8
	s_load_b64 s[24:25], s[0:1], 0xb0
	s_load_b64 s[46:47], s[0:1], 0x90
	s_load_b128 s[20:23], s[0:1], 0x80
	v_xor_b32_e32 v11, 4, v9
	s_wait_xcnt 0x0
	s_mul_u64 s[0:1], s[34:35], s[4:5]
	s_add_nc_u64 s[34:35], s[34:35], s[26:27]
	v_cmp_gt_i32_e32 vcc_lo, 32, v7
	s_add_nc_u64 s[0:1], s[0:1], s[26:27]
	s_delay_alu instid0(SALU_CYCLE_1) | instskip(SKIP_4) | instid1(VALU_DEP_1)
	s_lshl_b64 s[54:55], s[0:1], 9
	s_lshl_b64 s[0:1], s[6:7], 9
	v_cndmask_b32_e32 v7, v9, v7, vcc_lo
	s_add_nc_u64 s[56:57], s[48:49], s[0:1]
	s_mov_b32 s7, s3
	v_lshlrev_b32_e32 v12, 2, v7
	v_cmp_gt_i32_e32 vcc_lo, 32, v10
	s_wait_kmcnt 0x0
	s_mul_hi_u32 s28, s28, s26
	s_mul_hi_u32 s31, s31, s2
	s_add_co_i32 s0, s26, s28
	s_add_co_i32 s1, s2, s31
	v_dual_cndmask_b32 v13, v9, v10, vcc_lo :: v_dual_bitop2_b32 v10, 2, v9 bitop3:0x14
	v_ashrrev_i32_e32 v7, 31, v6
	v_cmp_gt_i32_e32 vcc_lo, 32, v11
	s_lshr_b32 s6, s0, s29
	v_xor_b32_e32 v14, 1, v9
	s_lshr_b32 s0, s1, s33
	s_mul_i32 s6, s6, s30
	v_cndmask_b32_e32 v15, v9, v11, vcc_lo
	v_cmp_gt_i32_e32 vcc_lo, 32, v10
	s_mov_b32 s1, s3
	s_sub_co_i32 s6, s26, s6
	s_mul_u64 s[0:1], s[12:13], s[0:1]
	s_mul_u64 s[6:7], s[8:9], s[6:7]
	v_dual_cndmask_b32 v16, v9, v10 :: v_dual_lshlrev_b32 v13, 2, v13
	v_cmp_gt_i32_e32 vcc_lo, 32, v14
	s_lshl_b64 s[0:1], s[0:1], 2
	s_lshl_b64 s[12:13], s[6:7], 2
	s_add_nc_u64 s[8:9], s[36:37], s[0:1]
	s_add_nc_u64 s[0:1], s[38:39], s[0:1]
	;; [unrolled: 1-line block ×4, first 2 shown]
	s_mul_u64 s[0:1], s[18:19], s[2:3]
	v_lshlrev_b64_e32 v[10:11], 2, v[6:7]
	v_cndmask_b32_e32 v6, v9, v14, vcc_lo
	s_lshl_b64 s[0:1], s[0:1], 2
	s_mul_u64 s[12:13], s[14:15], s[26:27]
	s_add_nc_u64 s[0:1], s[40:41], s[0:1]
	s_lshl_b64 s[12:13], s[12:13], 2
	v_dual_lshlrev_b32 v14, 2, v15 :: v_dual_lshlrev_b32 v15, 2, v16
	v_dual_lshlrev_b32 v16, 2, v6 :: v_dual_ashrrev_i32 v9, 31, v8
	s_add_nc_u64 s[0:1], s[0:1], s[12:13]
	s_lshl_b64 s[12:13], s[34:35], 16
	v_add_nc_u64_e32 v[6:7], s[0:1], v[10:11]
	s_add_nc_u64 s[14:15], s[56:57], s[12:13]
	s_mul_u64 s[18:19], s[46:47], s[2:3]
	v_lshl_add_u64 v[8:9], v[8:9], 2, s[14:15]
	s_add_nc_u64 s[14:15], s[48:49], s[54:55]
	s_mul_u64 s[20:21], s[20:21], s[26:27]
	v_add_nc_u64_e32 v[10:11], s[14:15], v[10:11]
	v_cmp_eq_u32_e64 s0, 0, v17
	s_add_nc_u64 s[18:19], s[18:19], s[20:21]
	s_lshl_b64 s[12:13], s[52:53], 14
	s_add_co_i32 s2, s4, -1
	s_lshl_b64 s[14:15], s[50:51], 9
	s_lshl_b64 s[18:19], s[18:19], 2
	;; [unrolled: 1-line block ×3, first 2 shown]
	s_mov_b64 s[22:23], 0
	s_branch .LBB11_3
.LBB11_2:                               ;   in Loop: Header=BB11_3 Depth=1
	s_add_nc_u64 s[22:23], s[22:23], 1
	v_add_nc_u64_e32 v[10:11], s[14:15], v[10:11]
	v_cmp_le_i64_e64 s1, s[4:5], s[22:23]
	v_add_nc_u64_e32 v[6:7], s[16:17], v[6:7]
	s_add_co_i32 s2, s2, -1
	s_add_nc_u64 s[6:7], s[6:7], s[10:11]
	s_add_nc_u64 s[18:19], s[18:19], s[20:21]
	;; [unrolled: 1-line block ×3, first 2 shown]
	s_and_b32 vcc_lo, exec_lo, s1
	s_cbranch_vccnz .LBB11_7
.LBB11_3:                               ; =>This Inner Loop Header: Depth=1
	s_wait_dscnt 0x0
	s_wait_xcnt 0x0
	v_add_nc_u64_e32 v[18:19], s[8:9], v[0:1]
	s_add_nc_u64 s[26:27], s[42:43], s[18:19]
	s_clause 0x3
	global_load_b32 v20, v[18:19], off
	global_load_b32 v21, v[18:19], off offset:128
	global_load_b32 v22, v[18:19], off offset:256
	global_load_b32 v23, v[18:19], off offset:384
	global_load_b32 v17, v1, s[26:27]
	global_load_b32 v26, v[6:7], off
	s_wait_xcnt 0x1
	s_add_nc_u64 s[26:27], s[44:45], s[18:19]
	v_add_nc_u64_e32 v[18:19], s[6:7], v[0:1]
	global_load_b32 v27, v1, s[26:27]
	s_clause 0x3
	global_load_b32 v28, v[18:19], off
	global_load_b32 v29, v[18:19], off offset:128
	global_load_b32 v30, v[18:19], off offset:256
	global_load_b32 v31, v[18:19], off offset:384
	s_wait_loadcnt 0x9
	s_wait_xcnt 0x0
	v_pk_mul_f32 v[18:19], v[2:3], v[20:21]
	s_wait_loadcnt 0x6
	v_readfirstlane_b32 s1, v17
	v_pk_mul_f32 v[24:25], v[4:5], v[22:23]
	v_cmp_ngt_f32_e32 vcc_lo, 0xc2ce8ed0, v17
	v_add_f32_e32 v18, 0, v18
	s_mul_f32 s1, s1, 0x3fb8aa3b
	s_delay_alu instid0(VALU_DEP_1) | instskip(NEXT) | instid1(SALU_CYCLE_2)
	v_add_f32_e32 v18, v18, v19
	s_xor_b32 s26, s1, 0x80000000
	s_delay_alu instid0(VALU_DEP_1) | instskip(SKIP_2) | instid1(VALU_DEP_2)
	v_add_f32_e32 v18, v18, v24
	v_fma_f32 v24, 0x3fb8aa3b, v17, s26
	s_rndne_f32 s26, s1
	v_add_f32_e32 v18, v18, v25
	s_delay_alu instid0(SALU_CYCLE_2)
	s_sub_f32 s1, s1, s26
	ds_bpermute_b32 v19, v12, v18
	s_wait_dscnt 0x0
	v_add_f32_e32 v18, v18, v19
	ds_bpermute_b32 v19, v13, v18
	s_wait_dscnt 0x0
	v_add_f32_e32 v18, v18, v19
	;; [unrolled: 3-line block ×3, first 2 shown]
	ds_bpermute_b32 v19, v15, v18
	s_wait_dscnt 0x0
	v_dual_fmac_f32 v24, 0x32a5705f, v17 :: v_dual_add_f32 v19, v18, v19
	s_delay_alu instid0(VALU_DEP_1) | instskip(SKIP_4) | instid1(TRANS32_DEP_1)
	v_add_f32_e32 v18, s1, v24
	s_cvt_i32_f32 s1, s26
	ds_bpermute_b32 v24, v16, v19
	v_exp_f32_e32 v18, v18
	v_nop
	v_ldexp_f32 v18, v18, s1
	s_delay_alu instid0(VALU_DEP_1) | instskip(SKIP_2) | instid1(VALU_DEP_2)
	v_cndmask_b32_e32 v18, 0, v18, vcc_lo
	v_cmp_nlt_f32_e32 vcc_lo, 0x42b17218, v17
	s_wait_dscnt 0x0
	v_dual_cndmask_b32 v18, 0x7f800000, v18 :: v_dual_add_f32 v17, v19, v24
	s_wait_loadcnt 0x5
	s_delay_alu instid0(VALU_DEP_1) | instskip(SKIP_1) | instid1(VALU_DEP_1)
	v_dual_mul_f32 v4, v18, v4 :: v_dual_fma_f32 v17, -v18, v17, v26
	s_wait_loadcnt 0x4
	v_mul_f32_e32 v24, v27, v17
	s_delay_alu instid0(VALU_DEP_1) | instskip(SKIP_1) | instid1(VALU_DEP_2)
	v_pk_mul_f32 v[20:21], v[24:25], v[20:21] op_sel_hi:[0,1]
	v_dual_mul_f32 v26, v24, v22 :: v_dual_mov_b32 v22, v5
	v_pk_fma_f32 v[2:3], v[18:19], v[2:3], v[20:21] op_sel_hi:[0,1,1]
	v_mov_b32_e32 v19, v24
	s_wait_loadcnt 0x3
	s_delay_alu instid0(VALU_DEP_2) | instskip(NEXT) | instid1(VALU_DEP_2)
	v_fma_f32 v17, v28, v2, 0
	v_pk_mul_f32 v[20:21], v[18:19], v[22:23]
	s_wait_loadcnt 0x2
	s_delay_alu instid0(VALU_DEP_1) | instskip(NEXT) | instid1(VALU_DEP_2)
	v_dual_fmac_f32 v17, v29, v3 :: v_dual_mov_b32 v5, v20
	v_mov_b32_e32 v27, v21
	s_delay_alu instid0(VALU_DEP_1) | instskip(SKIP_1) | instid1(VALU_DEP_1)
	v_pk_add_f32 v[4:5], v[4:5], v[26:27]
	s_wait_loadcnt 0x1
	v_fmac_f32_e32 v17, v30, v4
	s_wait_loadcnt 0x0
	s_delay_alu instid0(VALU_DEP_1)
	v_fmac_f32_e32 v17, v31, v5
	ds_bpermute_b32 v18, v12, v17
	s_wait_dscnt 0x0
	v_add_f32_e32 v17, v17, v18
	ds_bpermute_b32 v18, v13, v17
	s_wait_dscnt 0x0
	v_add_f32_e32 v17, v17, v18
	;; [unrolled: 3-line block ×4, first 2 shown]
	ds_bpermute_b32 v18, v16, v17
	s_and_saveexec_b32 s1, s0
	s_cbranch_execz .LBB11_5
; %bb.4:                                ;   in Loop: Header=BB11_3 Depth=1
	s_wait_dscnt 0x0
	v_add_f32_e32 v17, v17, v18
	s_delay_alu instid0(VALU_DEP_1)
	v_mul_f32_e32 v17, s24, v17
	global_store_b32 v[10:11], v17, off
.LBB11_5:                               ;   in Loop: Header=BB11_3 Depth=1
	s_wait_xcnt 0x0
	s_or_b32 exec_lo, exec_lo, s1
	s_cmp_lt_i32 s2, 0
	s_cselect_b32 s1, -1, 0
	s_cmp_ge_i32 s2, s25
	s_cselect_b32 s26, -1, 0
	s_delay_alu instid0(SALU_CYCLE_1) | instskip(NEXT) | instid1(SALU_CYCLE_1)
	s_or_b32 s1, s1, s26
	s_and_b32 vcc_lo, exec_lo, s1
	s_cbranch_vccnz .LBB11_2
; %bb.6:                                ;   in Loop: Header=BB11_3 Depth=1
	s_mul_u64 s[26:27], s[12:13], s[2:3]
	s_wait_dscnt 0x0
	v_lshl_add_u64 v[18:19], s[26:27], 2, v[8:9]
	s_clause 0x3
	global_store_b32 v[18:19], v2, off
	global_store_b32 v[18:19], v3, off offset:128
	global_store_b32 v[18:19], v4, off offset:256
	;; [unrolled: 1-line block ×3, first 2 shown]
	s_branch .LBB11_2
.LBB11_7:
	s_endpgm
	.section	.rodata,"a",@progbits
	.p2align	6, 0x0
	.amdhsa_kernel _Z20gated_delta_net_cudaILi128ELb0ELb1EEvPKfS1_S1_S1_S1_S1_Pfllllllllllll15HIP_vector_typeIjLj3EES4_fi
		.amdhsa_group_segment_fixed_size 0
		.amdhsa_private_segment_fixed_size 0
		.amdhsa_kernarg_size 440
		.amdhsa_user_sgpr_count 2
		.amdhsa_user_sgpr_dispatch_ptr 0
		.amdhsa_user_sgpr_queue_ptr 0
		.amdhsa_user_sgpr_kernarg_segment_ptr 1
		.amdhsa_user_sgpr_dispatch_id 0
		.amdhsa_user_sgpr_kernarg_preload_length 0
		.amdhsa_user_sgpr_kernarg_preload_offset 0
		.amdhsa_user_sgpr_private_segment_size 0
		.amdhsa_wavefront_size32 1
		.amdhsa_uses_dynamic_stack 0
		.amdhsa_enable_private_segment 0
		.amdhsa_system_sgpr_workgroup_id_x 1
		.amdhsa_system_sgpr_workgroup_id_y 1
		.amdhsa_system_sgpr_workgroup_id_z 1
		.amdhsa_system_sgpr_workgroup_info 0
		.amdhsa_system_vgpr_workitem_id 1
		.amdhsa_next_free_vgpr 32
		.amdhsa_next_free_sgpr 58
		.amdhsa_named_barrier_count 0
		.amdhsa_reserve_vcc 1
		.amdhsa_float_round_mode_32 0
		.amdhsa_float_round_mode_16_64 0
		.amdhsa_float_denorm_mode_32 3
		.amdhsa_float_denorm_mode_16_64 3
		.amdhsa_fp16_overflow 0
		.amdhsa_memory_ordered 1
		.amdhsa_forward_progress 1
		.amdhsa_inst_pref_size 12
		.amdhsa_round_robin_scheduling 0
		.amdhsa_exception_fp_ieee_invalid_op 0
		.amdhsa_exception_fp_denorm_src 0
		.amdhsa_exception_fp_ieee_div_zero 0
		.amdhsa_exception_fp_ieee_overflow 0
		.amdhsa_exception_fp_ieee_underflow 0
		.amdhsa_exception_fp_ieee_inexact 0
		.amdhsa_exception_int_div_zero 0
	.end_amdhsa_kernel
	.section	.text._Z20gated_delta_net_cudaILi128ELb0ELb1EEvPKfS1_S1_S1_S1_S1_Pfllllllllllll15HIP_vector_typeIjLj3EES4_fi,"axG",@progbits,_Z20gated_delta_net_cudaILi128ELb0ELb1EEvPKfS1_S1_S1_S1_S1_Pfllllllllllll15HIP_vector_typeIjLj3EES4_fi,comdat
.Lfunc_end11:
	.size	_Z20gated_delta_net_cudaILi128ELb0ELb1EEvPKfS1_S1_S1_S1_S1_Pfllllllllllll15HIP_vector_typeIjLj3EES4_fi, .Lfunc_end11-_Z20gated_delta_net_cudaILi128ELb0ELb1EEvPKfS1_S1_S1_S1_S1_Pfllllllllllll15HIP_vector_typeIjLj3EES4_fi
                                        ; -- End function
	.set _Z20gated_delta_net_cudaILi128ELb0ELb1EEvPKfS1_S1_S1_S1_S1_Pfllllllllllll15HIP_vector_typeIjLj3EES4_fi.num_vgpr, 32
	.set _Z20gated_delta_net_cudaILi128ELb0ELb1EEvPKfS1_S1_S1_S1_S1_Pfllllllllllll15HIP_vector_typeIjLj3EES4_fi.num_agpr, 0
	.set _Z20gated_delta_net_cudaILi128ELb0ELb1EEvPKfS1_S1_S1_S1_S1_Pfllllllllllll15HIP_vector_typeIjLj3EES4_fi.numbered_sgpr, 58
	.set _Z20gated_delta_net_cudaILi128ELb0ELb1EEvPKfS1_S1_S1_S1_S1_Pfllllllllllll15HIP_vector_typeIjLj3EES4_fi.num_named_barrier, 0
	.set _Z20gated_delta_net_cudaILi128ELb0ELb1EEvPKfS1_S1_S1_S1_S1_Pfllllllllllll15HIP_vector_typeIjLj3EES4_fi.private_seg_size, 0
	.set _Z20gated_delta_net_cudaILi128ELb0ELb1EEvPKfS1_S1_S1_S1_S1_Pfllllllllllll15HIP_vector_typeIjLj3EES4_fi.uses_vcc, 1
	.set _Z20gated_delta_net_cudaILi128ELb0ELb1EEvPKfS1_S1_S1_S1_S1_Pfllllllllllll15HIP_vector_typeIjLj3EES4_fi.uses_flat_scratch, 0
	.set _Z20gated_delta_net_cudaILi128ELb0ELb1EEvPKfS1_S1_S1_S1_S1_Pfllllllllllll15HIP_vector_typeIjLj3EES4_fi.has_dyn_sized_stack, 0
	.set _Z20gated_delta_net_cudaILi128ELb0ELb1EEvPKfS1_S1_S1_S1_S1_Pfllllllllllll15HIP_vector_typeIjLj3EES4_fi.has_recursion, 0
	.set _Z20gated_delta_net_cudaILi128ELb0ELb1EEvPKfS1_S1_S1_S1_S1_Pfllllllllllll15HIP_vector_typeIjLj3EES4_fi.has_indirect_call, 0
	.section	.AMDGPU.csdata,"",@progbits
; Kernel info:
; codeLenInByte = 1520
; TotalNumSgprs: 60
; NumVgprs: 32
; ScratchSize: 0
; MemoryBound: 0
; FloatMode: 240
; IeeeMode: 1
; LDSByteSize: 0 bytes/workgroup (compile time only)
; SGPRBlocks: 0
; VGPRBlocks: 1
; NumSGPRsForWavesPerEU: 60
; NumVGPRsForWavesPerEU: 32
; NamedBarCnt: 0
; Occupancy: 16
; WaveLimiterHint : 1
; COMPUTE_PGM_RSRC2:SCRATCH_EN: 0
; COMPUTE_PGM_RSRC2:USER_SGPR: 2
; COMPUTE_PGM_RSRC2:TRAP_HANDLER: 0
; COMPUTE_PGM_RSRC2:TGID_X_EN: 1
; COMPUTE_PGM_RSRC2:TGID_Y_EN: 1
; COMPUTE_PGM_RSRC2:TGID_Z_EN: 1
; COMPUTE_PGM_RSRC2:TIDIG_COMP_CNT: 1
	.section	.text._Z20gated_delta_net_cudaILi16ELb0ELb0EEvPKfS1_S1_S1_S1_S1_Pfllllllllllll15HIP_vector_typeIjLj3EES4_fi,"axG",@progbits,_Z20gated_delta_net_cudaILi16ELb0ELb0EEvPKfS1_S1_S1_S1_S1_Pfllllllllllll15HIP_vector_typeIjLj3EES4_fi,comdat
	.protected	_Z20gated_delta_net_cudaILi16ELb0ELb0EEvPKfS1_S1_S1_S1_S1_Pfllllllllllll15HIP_vector_typeIjLj3EES4_fi ; -- Begin function _Z20gated_delta_net_cudaILi16ELb0ELb0EEvPKfS1_S1_S1_S1_S1_Pfllllllllllll15HIP_vector_typeIjLj3EES4_fi
	.globl	_Z20gated_delta_net_cudaILi16ELb0ELb0EEvPKfS1_S1_S1_S1_S1_Pfllllllllllll15HIP_vector_typeIjLj3EES4_fi
	.p2align	8
	.type	_Z20gated_delta_net_cudaILi16ELb0ELb0EEvPKfS1_S1_S1_S1_S1_Pfllllllllllll15HIP_vector_typeIjLj3EES4_fi,@function
_Z20gated_delta_net_cudaILi16ELb0ELb0EEvPKfS1_S1_S1_S1_S1_Pfllllllllllll15HIP_vector_typeIjLj3EES4_fi: ; @_Z20gated_delta_net_cudaILi16ELb0ELb0EEvPKfS1_S1_S1_S1_S1_Pfllllllllllll15HIP_vector_typeIjLj3EES4_fi
; %bb.0:
	s_load_u16 s3, s[0:1], 0xc6
	s_bfe_u32 s2, ttmp6, 0x40010
	s_and_b32 s20, ttmp7, 0xffff
	s_add_co_i32 s2, s2, 1
	s_bfe_u32 s21, ttmp6, 0x40004
	s_mul_i32 s2, s20, s2
	s_bfe_u32 s23, ttmp6, 0x40014
	s_add_co_i32 s22, s21, s2
	s_bfe_u32 s2, ttmp6, 0x4000c
	s_lshr_b32 s24, ttmp7, 16
	s_add_co_i32 s2, s2, 1
	s_add_co_i32 s23, s23, 1
	s_and_b32 s21, ttmp6, 15
	s_mul_i32 s2, ttmp9, s2
	s_load_b512 s[4:19], s[0:1], 0x0
	s_mul_i32 s23, s24, s23
	s_bfe_u32 s25, ttmp6, 0x40008
	s_add_co_i32 s2, s21, s2
	s_getreg_b32 s21, hwreg(HW_REG_IB_STS2, 6, 4)
	s_add_co_i32 s25, s25, s23
	v_bfe_u32 v1, v0, 10, 10
	s_cmp_eq_u32 s21, 0
	v_and_b32_e32 v10, 0x3ff, v0
	s_cselect_b32 s21, s24, s25
	s_cselect_b32 s30, s20, s22
	s_wait_kmcnt 0x0
	v_mad_u32 v4, s21, s3, v1
	s_mov_b32 s3, 0
	s_cselect_b32 s2, ttmp9, s2
	s_mov_b32 s31, s3
	s_mov_b32 s21, s3
	s_lshl_b32 s20, s2, 8
	v_mov_b32_e32 v3, 0
	s_lshl_b64 s[20:21], s[20:21], 2
	s_load_b512 s[36:51], s[0:1], 0x40
	s_mul_u64 s[28:29], s[18:19], s[30:31]
	s_delay_alu instid0(VALU_DEP_2) | instskip(SKIP_1) | instid1(SALU_CYCLE_1)
	v_dual_lshlrev_b32 v2, 2, v10 :: v_dual_lshlrev_b32 v0, 4, v4
	s_lshl_b64 s[22:23], s[28:29], 10
	s_add_nc_u64 s[14:15], s[14:15], s[22:23]
	s_delay_alu instid0(VALU_DEP_1)
	v_ashrrev_i32_e32 v1, 31, v0
	s_add_nc_u64 s[14:15], s[14:15], s[20:21]
	s_delay_alu instid0(VALU_DEP_1) | instid1(SALU_CYCLE_1)
	v_lshl_add_u64 v[6:7], v[0:1], 2, s[14:15]
	s_delay_alu instid0(VALU_DEP_1)
	v_add_nc_u64_e32 v[6:7], v[6:7], v[2:3]
	s_wait_kmcnt 0x0
	v_cmp_lt_i64_e64 s14, s[36:37], 1
	global_load_b32 v1, v[6:7], off
	s_and_b32 vcc_lo, exec_lo, s14
	s_cbranch_vccnz .LBB12_5
; %bb.1:
	s_wait_xcnt 0x0
	v_mbcnt_lo_u32_b32 v6, -1, 0
	s_clause 0x4
	s_load_b128 s[24:27], s[0:1], 0x98
	s_load_b128 s[20:23], s[0:1], 0x80
	s_load_b64 s[14:15], s[0:1], 0x90
	s_load_b32 s54, s[0:1], 0xa8
	s_load_b32 s33, s[0:1], 0xb0
	s_mul_u64 s[50:51], s[50:51], s[30:31]
	s_wait_xcnt 0x0
	s_mul_u64 s[0:1], s[28:29], s[36:37]
	s_mul_u64 s[46:47], s[46:47], s[2:3]
	v_xor_b32_e32 v8, 4, v6
	v_and_b32_e32 v5, 16, v6
	v_xor_b32_e32 v9, 2, v6
	s_lshl_b64 s[50:51], s[50:51], 2
	s_mov_b32 s53, s3
	s_add_nc_u64 s[0:1], s[0:1], s[2:3]
	v_dual_add_nc_u32 v7, 16, v5 :: v_dual_bitop2_b32 v5, 8, v6 bitop3:0x14
	s_lshl_b64 s[46:47], s[46:47], 2
	s_add_nc_u64 s[8:9], s[8:9], s[50:51]
	s_lshl_b64 s[50:51], s[0:1], 6
	s_add_nc_u64 s[0:1], s[8:9], s[46:47]
	v_cmp_lt_i32_e32 vcc_lo, v5, v7
	s_wait_kmcnt 0x0
	s_mov_b32 s52, s24
	s_mov_b32 s35, s3
	s_mul_u64 s[8:9], s[52:53], s[2:3]
	s_mov_b32 s34, s27
	v_cndmask_b32_e32 v11, v6, v5, vcc_lo
	v_cmp_lt_i32_e32 vcc_lo, v8, v7
	v_ashrrev_i32_e32 v5, 31, v4
	s_add_co_i32 s24, s2, s9
	s_mul_u64 s[8:9], s[34:35], s[30:31]
	s_lshr_b32 s8, s24, s25
	v_cndmask_b32_e32 v8, v6, v8, vcc_lo
	v_cmp_lt_i32_e32 vcc_lo, v9, v7
	v_xor_b32_e32 v12, 1, v6
	s_add_co_i32 s9, s30, s9
	s_mul_i32 s8, s8, s26
	s_mov_b32 s55, s3
	v_cndmask_b32_e32 v13, v6, v9, vcc_lo
	v_cmp_lt_i32_e32 vcc_lo, v12, v7
	s_mov_b32 s57, s3
	s_lshr_b32 s54, s9, s54
	s_sub_co_i32 s56, s2, s8
	s_mul_u64 s[8:9], s[44:45], s[54:55]
	v_dual_cndmask_b32 v6, v6, v12 :: v_dual_lshlrev_b32 v11, 2, v11
	v_dual_lshlrev_b32 v12, 2, v8 :: v_dual_lshlrev_b32 v13, 2, v13
	v_lshlrev_b64_e32 v[8:9], 2, v[4:5]
	s_mul_u64 s[24:25], s[40:41], s[56:57]
	s_lshl_b64 s[8:9], s[8:9], 2
	s_lshl_b64 s[24:25], s[24:25], 2
	v_lshlrev_b32_e32 v14, 2, v6
	s_add_nc_u64 s[8:9], s[8:9], s[24:25]
	s_add_nc_u64 s[24:25], s[16:17], s[50:51]
	v_add_nc_u64_e32 v[4:5], s[0:1], v[8:9]
	v_add_nc_u64_e32 v[6:7], s[8:9], v[2:3]
	;; [unrolled: 1-line block ×3, first 2 shown]
	s_mul_u64 s[14:15], s[14:15], s[30:31]
	s_mul_u64 s[20:21], s[20:21], s[2:3]
	v_cmp_eq_u32_e64 s0, 0, v10
	s_add_nc_u64 s[20:21], s[14:15], s[20:21]
	s_lshl_b64 s[8:9], s[42:43], 2
	s_lshl_b64 s[14:15], s[48:49], 2
	;; [unrolled: 1-line block ×5, first 2 shown]
	s_mov_b64 s[26:27], 0
	s_branch .LBB12_3
.LBB12_2:                               ;   in Loop: Header=BB12_3 Depth=1
	s_wait_xcnt 0x0
	s_or_b32 exec_lo, exec_lo, s1
	s_add_nc_u64 s[26:27], s[26:27], 1
	v_add_nc_u64_e32 v[6:7], s[8:9], v[6:7]
	v_cmp_le_i64_e64 s1, s[36:37], s[26:27]
	v_add_nc_u64_e32 v[4:5], s[14:15], v[4:5]
	v_add_nc_u64_e32 v[8:9], s[24:25], v[8:9]
	s_add_nc_u64 s[20:21], s[20:21], s[22:23]
	s_and_b32 vcc_lo, exec_lo, s1
	s_cbranch_vccnz .LBB12_5
.LBB12_3:                               ; =>This Inner Loop Header: Depth=1
	v_add_nc_u64_e32 v[16:17], s[6:7], v[6:7]
	s_add_nc_u64 s[30:31], s[10:11], s[20:21]
	global_load_b32 v2, v[16:17], off
	s_wait_dscnt 0x0
	global_load_b32 v15, v3, s[30:31]
	global_load_b32 v18, v[4:5], off
	s_wait_xcnt 0x1
	s_add_nc_u64 s[30:31], s[12:13], s[20:21]
	v_add_nc_u64_e32 v[16:17], s[4:5], v[6:7]
	global_load_b32 v19, v3, s[30:31]
	global_load_b32 v16, v[16:17], off
	s_wait_loadcnt 0x3
	v_readfirstlane_b32 s1, v15
	s_wait_xcnt 0x0
	v_fma_f32 v17, v1, v2, 0
	v_cmp_ngt_f32_e32 vcc_lo, 0xc2ce8ed0, v15
	s_mul_f32 s1, s1, 0x3fb8aa3b
	ds_bpermute_b32 v20, v11, v17
	s_xor_b32 s30, s1, 0x80000000
	s_delay_alu instid0(SALU_CYCLE_1) | instskip(SKIP_1) | instid1(SALU_CYCLE_3)
	v_fma_f32 v21, 0x3fb8aa3b, v15, s30
	s_rndne_f32 s30, s1
	s_sub_f32 s1, s1, s30
	s_delay_alu instid0(VALU_DEP_1)
	v_fmac_f32_e32 v21, 0x32a5705f, v15
	s_wait_dscnt 0x0
	v_add_f32_e32 v17, v17, v20
	ds_bpermute_b32 v20, v12, v17
	s_wait_dscnt 0x0
	v_add_f32_e32 v17, v17, v20
	ds_bpermute_b32 v20, v13, v17
	s_wait_dscnt 0x0
	v_dual_add_f32 v17, v17, v20 :: v_dual_add_f32 v20, s1, v21
	s_cvt_i32_f32 s1, s30
	s_delay_alu instid0(VALU_DEP_1)
	v_exp_f32_e32 v20, v20
	v_nop
	s_delay_alu instid0(TRANS32_DEP_1) | instid1(SALU_CYCLE_1)
	v_ldexp_f32 v20, v20, s1
	s_delay_alu instid0(VALU_DEP_1) | instskip(SKIP_1) | instid1(VALU_DEP_2)
	v_cndmask_b32_e32 v20, 0, v20, vcc_lo
	v_cmp_nlt_f32_e32 vcc_lo, 0x42b17218, v15
	v_cndmask_b32_e32 v15, 0x7f800000, v20, vcc_lo
	s_delay_alu instid0(VALU_DEP_1) | instskip(SKIP_4) | instid1(VALU_DEP_1)
	v_mul_f32_e32 v1, v15, v1
	ds_bpermute_b32 v21, v14, v17
	s_wait_dscnt 0x0
	v_add_f32_e32 v17, v17, v21
	s_wait_loadcnt 0x2
	v_fma_f32 v17, -v15, v17, v18
	s_wait_loadcnt 0x1
	s_delay_alu instid0(VALU_DEP_1) | instskip(NEXT) | instid1(VALU_DEP_1)
	v_mul_f32_e32 v17, v19, v17
	v_fmac_f32_e32 v1, v2, v17
	s_wait_loadcnt 0x0
	s_delay_alu instid0(VALU_DEP_1)
	v_fma_f32 v2, v16, v1, 0
	ds_bpermute_b32 v15, v11, v2
	s_wait_dscnt 0x0
	v_add_f32_e32 v2, v2, v15
	ds_bpermute_b32 v15, v12, v2
	s_wait_dscnt 0x0
	v_add_f32_e32 v2, v2, v15
	;; [unrolled: 3-line block ×3, first 2 shown]
	ds_bpermute_b32 v15, v14, v2
	s_and_saveexec_b32 s1, s0
	s_cbranch_execz .LBB12_2
; %bb.4:                                ;   in Loop: Header=BB12_3 Depth=1
	s_wait_dscnt 0x0
	v_add_f32_e32 v2, v2, v15
	s_delay_alu instid0(VALU_DEP_1)
	v_mul_f32_e32 v2, s33, v2
	global_store_b32 v[8:9], v2, off
	s_branch .LBB12_2
.LBB12_5:
	s_mul_u64 s[0:1], s[18:19], s[36:37]
	s_add_nc_u64 s[2:3], s[28:29], s[2:3]
	s_mul_u64 s[0:1], s[0:1], s[38:39]
	v_add_nc_u32_e32 v0, v0, v10
	s_lshl_b64 s[0:1], s[0:1], 6
	s_lshl_b64 s[2:3], s[2:3], 10
	s_add_nc_u64 s[0:1], s[16:17], s[0:1]
	s_delay_alu instid0(SALU_CYCLE_1)
	s_add_nc_u64 s[0:1], s[0:1], s[2:3]
	s_wait_loadcnt 0x0
	global_store_b32 v0, v1, s[0:1] scale_offset
	s_endpgm
	.section	.rodata,"a",@progbits
	.p2align	6, 0x0
	.amdhsa_kernel _Z20gated_delta_net_cudaILi16ELb0ELb0EEvPKfS1_S1_S1_S1_S1_Pfllllllllllll15HIP_vector_typeIjLj3EES4_fi
		.amdhsa_group_segment_fixed_size 0
		.amdhsa_private_segment_fixed_size 0
		.amdhsa_kernarg_size 440
		.amdhsa_user_sgpr_count 2
		.amdhsa_user_sgpr_dispatch_ptr 0
		.amdhsa_user_sgpr_queue_ptr 0
		.amdhsa_user_sgpr_kernarg_segment_ptr 1
		.amdhsa_user_sgpr_dispatch_id 0
		.amdhsa_user_sgpr_kernarg_preload_length 0
		.amdhsa_user_sgpr_kernarg_preload_offset 0
		.amdhsa_user_sgpr_private_segment_size 0
		.amdhsa_wavefront_size32 1
		.amdhsa_uses_dynamic_stack 0
		.amdhsa_enable_private_segment 0
		.amdhsa_system_sgpr_workgroup_id_x 1
		.amdhsa_system_sgpr_workgroup_id_y 1
		.amdhsa_system_sgpr_workgroup_id_z 1
		.amdhsa_system_sgpr_workgroup_info 0
		.amdhsa_system_vgpr_workitem_id 1
		.amdhsa_next_free_vgpr 22
		.amdhsa_next_free_sgpr 58
		.amdhsa_named_barrier_count 0
		.amdhsa_reserve_vcc 1
		.amdhsa_float_round_mode_32 0
		.amdhsa_float_round_mode_16_64 0
		.amdhsa_float_denorm_mode_32 3
		.amdhsa_float_denorm_mode_16_64 3
		.amdhsa_fp16_overflow 0
		.amdhsa_memory_ordered 1
		.amdhsa_forward_progress 1
		.amdhsa_inst_pref_size 9
		.amdhsa_round_robin_scheduling 0
		.amdhsa_exception_fp_ieee_invalid_op 0
		.amdhsa_exception_fp_denorm_src 0
		.amdhsa_exception_fp_ieee_div_zero 0
		.amdhsa_exception_fp_ieee_overflow 0
		.amdhsa_exception_fp_ieee_underflow 0
		.amdhsa_exception_fp_ieee_inexact 0
		.amdhsa_exception_int_div_zero 0
	.end_amdhsa_kernel
	.section	.text._Z20gated_delta_net_cudaILi16ELb0ELb0EEvPKfS1_S1_S1_S1_S1_Pfllllllllllll15HIP_vector_typeIjLj3EES4_fi,"axG",@progbits,_Z20gated_delta_net_cudaILi16ELb0ELb0EEvPKfS1_S1_S1_S1_S1_Pfllllllllllll15HIP_vector_typeIjLj3EES4_fi,comdat
.Lfunc_end12:
	.size	_Z20gated_delta_net_cudaILi16ELb0ELb0EEvPKfS1_S1_S1_S1_S1_Pfllllllllllll15HIP_vector_typeIjLj3EES4_fi, .Lfunc_end12-_Z20gated_delta_net_cudaILi16ELb0ELb0EEvPKfS1_S1_S1_S1_S1_Pfllllllllllll15HIP_vector_typeIjLj3EES4_fi
                                        ; -- End function
	.set _Z20gated_delta_net_cudaILi16ELb0ELb0EEvPKfS1_S1_S1_S1_S1_Pfllllllllllll15HIP_vector_typeIjLj3EES4_fi.num_vgpr, 22
	.set _Z20gated_delta_net_cudaILi16ELb0ELb0EEvPKfS1_S1_S1_S1_S1_Pfllllllllllll15HIP_vector_typeIjLj3EES4_fi.num_agpr, 0
	.set _Z20gated_delta_net_cudaILi16ELb0ELb0EEvPKfS1_S1_S1_S1_S1_Pfllllllllllll15HIP_vector_typeIjLj3EES4_fi.numbered_sgpr, 58
	.set _Z20gated_delta_net_cudaILi16ELb0ELb0EEvPKfS1_S1_S1_S1_S1_Pfllllllllllll15HIP_vector_typeIjLj3EES4_fi.num_named_barrier, 0
	.set _Z20gated_delta_net_cudaILi16ELb0ELb0EEvPKfS1_S1_S1_S1_S1_Pfllllllllllll15HIP_vector_typeIjLj3EES4_fi.private_seg_size, 0
	.set _Z20gated_delta_net_cudaILi16ELb0ELb0EEvPKfS1_S1_S1_S1_S1_Pfllllllllllll15HIP_vector_typeIjLj3EES4_fi.uses_vcc, 1
	.set _Z20gated_delta_net_cudaILi16ELb0ELb0EEvPKfS1_S1_S1_S1_S1_Pfllllllllllll15HIP_vector_typeIjLj3EES4_fi.uses_flat_scratch, 0
	.set _Z20gated_delta_net_cudaILi16ELb0ELb0EEvPKfS1_S1_S1_S1_S1_Pfllllllllllll15HIP_vector_typeIjLj3EES4_fi.has_dyn_sized_stack, 0
	.set _Z20gated_delta_net_cudaILi16ELb0ELb0EEvPKfS1_S1_S1_S1_S1_Pfllllllllllll15HIP_vector_typeIjLj3EES4_fi.has_recursion, 0
	.set _Z20gated_delta_net_cudaILi16ELb0ELb0EEvPKfS1_S1_S1_S1_S1_Pfllllllllllll15HIP_vector_typeIjLj3EES4_fi.has_indirect_call, 0
	.section	.AMDGPU.csdata,"",@progbits
; Kernel info:
; codeLenInByte = 1140
; TotalNumSgprs: 60
; NumVgprs: 22
; ScratchSize: 0
; MemoryBound: 0
; FloatMode: 240
; IeeeMode: 1
; LDSByteSize: 0 bytes/workgroup (compile time only)
; SGPRBlocks: 0
; VGPRBlocks: 1
; NumSGPRsForWavesPerEU: 60
; NumVGPRsForWavesPerEU: 22
; NamedBarCnt: 0
; Occupancy: 16
; WaveLimiterHint : 0
; COMPUTE_PGM_RSRC2:SCRATCH_EN: 0
; COMPUTE_PGM_RSRC2:USER_SGPR: 2
; COMPUTE_PGM_RSRC2:TRAP_HANDLER: 0
; COMPUTE_PGM_RSRC2:TGID_X_EN: 1
; COMPUTE_PGM_RSRC2:TGID_Y_EN: 1
; COMPUTE_PGM_RSRC2:TGID_Z_EN: 1
; COMPUTE_PGM_RSRC2:TIDIG_COMP_CNT: 1
	.section	.text._Z20gated_delta_net_cudaILi32ELb0ELb0EEvPKfS1_S1_S1_S1_S1_Pfllllllllllll15HIP_vector_typeIjLj3EES4_fi,"axG",@progbits,_Z20gated_delta_net_cudaILi32ELb0ELb0EEvPKfS1_S1_S1_S1_S1_Pfllllllllllll15HIP_vector_typeIjLj3EES4_fi,comdat
	.protected	_Z20gated_delta_net_cudaILi32ELb0ELb0EEvPKfS1_S1_S1_S1_S1_Pfllllllllllll15HIP_vector_typeIjLj3EES4_fi ; -- Begin function _Z20gated_delta_net_cudaILi32ELb0ELb0EEvPKfS1_S1_S1_S1_S1_Pfllllllllllll15HIP_vector_typeIjLj3EES4_fi
	.globl	_Z20gated_delta_net_cudaILi32ELb0ELb0EEvPKfS1_S1_S1_S1_S1_Pfllllllllllll15HIP_vector_typeIjLj3EES4_fi
	.p2align	8
	.type	_Z20gated_delta_net_cudaILi32ELb0ELb0EEvPKfS1_S1_S1_S1_S1_Pfllllllllllll15HIP_vector_typeIjLj3EES4_fi,@function
_Z20gated_delta_net_cudaILi32ELb0ELb0EEvPKfS1_S1_S1_S1_S1_Pfllllllllllll15HIP_vector_typeIjLj3EES4_fi: ; @_Z20gated_delta_net_cudaILi32ELb0ELb0EEvPKfS1_S1_S1_S1_S1_Pfllllllllllll15HIP_vector_typeIjLj3EES4_fi
; %bb.0:
	s_load_u16 s3, s[0:1], 0xc6
	s_bfe_u32 s2, ttmp6, 0x40010
	s_and_b32 s20, ttmp7, 0xffff
	s_add_co_i32 s2, s2, 1
	s_bfe_u32 s21, ttmp6, 0x40004
	s_mul_i32 s2, s20, s2
	s_bfe_u32 s23, ttmp6, 0x40014
	s_add_co_i32 s22, s21, s2
	s_bfe_u32 s2, ttmp6, 0x4000c
	s_lshr_b32 s24, ttmp7, 16
	s_add_co_i32 s2, s2, 1
	s_add_co_i32 s23, s23, 1
	s_and_b32 s21, ttmp6, 15
	s_mul_i32 s2, ttmp9, s2
	s_load_b512 s[4:19], s[0:1], 0x0
	s_mul_i32 s23, s24, s23
	s_bfe_u32 s25, ttmp6, 0x40008
	s_add_co_i32 s2, s21, s2
	s_getreg_b32 s21, hwreg(HW_REG_IB_STS2, 6, 4)
	s_add_co_i32 s25, s25, s23
	v_bfe_u32 v1, v0, 10, 10
	s_cmp_eq_u32 s21, 0
	v_and_b32_e32 v10, 0x3ff, v0
	s_cselect_b32 s21, s24, s25
	s_cselect_b32 s30, s20, s22
	s_wait_kmcnt 0x0
	v_mad_u32 v4, s21, s3, v1
	s_mov_b32 s3, 0
	s_cselect_b32 s2, ttmp9, s2
	s_mov_b32 s31, s3
	s_mov_b32 s21, s3
	s_lshl_b32 s20, s2, 10
	v_mov_b32_e32 v3, 0
	s_lshl_b64 s[20:21], s[20:21], 2
	s_load_b512 s[36:51], s[0:1], 0x40
	s_mul_u64 s[28:29], s[18:19], s[30:31]
	s_delay_alu instid0(VALU_DEP_2) | instskip(SKIP_1) | instid1(SALU_CYCLE_1)
	v_dual_lshlrev_b32 v2, 2, v10 :: v_dual_lshlrev_b32 v0, 5, v4
	s_lshl_b64 s[22:23], s[28:29], 12
	s_add_nc_u64 s[14:15], s[14:15], s[22:23]
	s_delay_alu instid0(VALU_DEP_1)
	v_ashrrev_i32_e32 v1, 31, v0
	s_add_nc_u64 s[14:15], s[14:15], s[20:21]
	s_delay_alu instid0(VALU_DEP_1) | instid1(SALU_CYCLE_1)
	v_lshl_add_u64 v[6:7], v[0:1], 2, s[14:15]
	s_delay_alu instid0(VALU_DEP_1)
	v_add_nc_u64_e32 v[6:7], v[6:7], v[2:3]
	s_wait_kmcnt 0x0
	v_cmp_lt_i64_e64 s14, s[36:37], 1
	global_load_b32 v1, v[6:7], off
	s_and_b32 vcc_lo, exec_lo, s14
	s_cbranch_vccnz .LBB13_5
; %bb.1:
	s_wait_xcnt 0x0
	v_mbcnt_lo_u32_b32 v6, -1, 0
	s_clause 0x4
	s_load_b128 s[24:27], s[0:1], 0x98
	s_load_b128 s[20:23], s[0:1], 0x80
	s_load_b64 s[14:15], s[0:1], 0x90
	s_load_b32 s54, s[0:1], 0xa8
	s_load_b32 s33, s[0:1], 0xb0
	s_wait_xcnt 0x0
	s_mul_u64 s[0:1], s[28:29], s[36:37]
	s_mul_u64 s[50:51], s[50:51], s[30:31]
	s_mov_b32 s53, s3
	v_xor_b32_e32 v7, 8, v6
	v_xor_b32_e32 v5, 16, v6
	s_add_nc_u64 s[0:1], s[0:1], s[2:3]
	s_lshl_b64 s[50:51], s[50:51], 2
	s_lshl_b64 s[58:59], s[0:1], 7
	s_add_nc_u64 s[0:1], s[8:9], s[50:51]
	v_cmp_gt_i32_e32 vcc_lo, 32, v5
	s_mov_b32 s35, s3
	s_mov_b32 s55, s3
	;; [unrolled: 1-line block ×3, first 2 shown]
	v_dual_cndmask_b32 v5, v6, v5, vcc_lo :: v_dual_bitop2_b32 v8, 2, v6 bitop3:0x14
	s_wait_kmcnt 0x0
	s_mov_b32 s52, s24
	s_mov_b32 s34, s27
	s_mul_u64 s[8:9], s[52:53], s[2:3]
	s_mul_u64 s[46:47], s[46:47], s[2:3]
	v_dual_lshlrev_b32 v11, 2, v5 :: v_dual_bitop2_b32 v5, 4, v6 bitop3:0x14
	v_cmp_gt_i32_e32 vcc_lo, 32, v7
	s_add_co_i32 s24, s2, s9
	s_mul_u64 s[8:9], s[34:35], s[30:31]
	s_lshr_b32 s8, s24, s25
	s_add_co_i32 s9, s30, s9
	v_cndmask_b32_e32 v7, v6, v7, vcc_lo
	v_cmp_gt_i32_e32 vcc_lo, 32, v5
	v_xor_b32_e32 v9, 1, v6
	s_mul_i32 s8, s8, s26
	s_lshr_b32 s54, s9, s54
	s_sub_co_i32 s56, s2, s8
	v_cndmask_b32_e32 v13, v6, v5, vcc_lo
	v_cmp_gt_i32_e32 vcc_lo, 32, v8
	s_mul_u64 s[8:9], s[44:45], s[54:55]
	s_mul_u64 s[24:25], s[40:41], s[56:57]
	s_lshl_b64 s[46:47], s[46:47], 2
	s_lshl_b64 s[8:9], s[8:9], 2
	v_cndmask_b32_e32 v14, v6, v8, vcc_lo
	v_cmp_gt_i32_e32 vcc_lo, 32, v9
	v_ashrrev_i32_e32 v5, 31, v4
	s_lshl_b64 s[24:25], s[24:25], 2
	s_add_nc_u64 s[0:1], s[0:1], s[46:47]
	s_add_nc_u64 s[8:9], s[8:9], s[24:25]
	v_cndmask_b32_e32 v6, v6, v9, vcc_lo
	v_lshlrev_b64_e32 v[8:9], 2, v[4:5]
	s_add_nc_u64 s[24:25], s[16:17], s[58:59]
	v_dual_lshlrev_b32 v12, 2, v7 :: v_dual_lshlrev_b32 v13, 2, v13
	s_delay_alu instid0(VALU_DEP_3) | instskip(SKIP_2) | instid1(VALU_DEP_4)
	v_lshlrev_b32_e32 v15, 2, v6
	v_add_nc_u64_e32 v[6:7], s[8:9], v[2:3]
	s_mul_u64 s[14:15], s[14:15], s[30:31]
	v_add_nc_u64_e32 v[4:5], s[0:1], v[8:9]
	v_add_nc_u64_e32 v[8:9], s[24:25], v[8:9]
	s_mul_u64 s[20:21], s[20:21], s[2:3]
	v_lshlrev_b32_e32 v14, 2, v14
	v_cmp_eq_u32_e64 s0, 0, v10
	s_add_nc_u64 s[20:21], s[14:15], s[20:21]
	s_lshl_b64 s[8:9], s[42:43], 2
	s_lshl_b64 s[14:15], s[48:49], 2
	;; [unrolled: 1-line block ×5, first 2 shown]
	s_mov_b64 s[26:27], 0
	s_branch .LBB13_3
.LBB13_2:                               ;   in Loop: Header=BB13_3 Depth=1
	s_wait_xcnt 0x0
	s_or_b32 exec_lo, exec_lo, s1
	s_add_nc_u64 s[26:27], s[26:27], 1
	v_add_nc_u64_e32 v[6:7], s[8:9], v[6:7]
	v_cmp_le_i64_e64 s1, s[36:37], s[26:27]
	v_add_nc_u64_e32 v[4:5], s[14:15], v[4:5]
	v_add_nc_u64_e32 v[8:9], s[24:25], v[8:9]
	s_add_nc_u64 s[20:21], s[20:21], s[22:23]
	s_and_b32 vcc_lo, exec_lo, s1
	s_cbranch_vccnz .LBB13_5
.LBB13_3:                               ; =>This Inner Loop Header: Depth=1
	s_wait_dscnt 0x0
	v_add_nc_u64_e32 v[16:17], s[6:7], v[6:7]
	s_add_nc_u64 s[30:31], s[10:11], s[20:21]
	global_load_b32 v2, v[16:17], off
	global_load_b32 v18, v3, s[30:31]
	global_load_b32 v19, v[4:5], off
	s_wait_xcnt 0x1
	s_add_nc_u64 s[30:31], s[12:13], s[20:21]
	v_add_nc_u64_e32 v[16:17], s[4:5], v[6:7]
	global_load_b32 v20, v3, s[30:31]
	global_load_b32 v16, v[16:17], off
	s_wait_loadcnt 0x3
	v_readfirstlane_b32 s1, v18
	s_wait_xcnt 0x0
	v_fma_f32 v17, v1, v2, 0
	v_cmp_ngt_f32_e32 vcc_lo, 0xc2ce8ed0, v18
	s_mul_f32 s1, s1, 0x3fb8aa3b
	ds_bpermute_b32 v21, v11, v17
	s_xor_b32 s30, s1, 0x80000000
	s_delay_alu instid0(SALU_CYCLE_1) | instskip(SKIP_1) | instid1(SALU_CYCLE_3)
	v_fma_f32 v22, 0x3fb8aa3b, v18, s30
	s_rndne_f32 s30, s1
	s_sub_f32 s1, s1, s30
	s_wait_dscnt 0x0
	s_delay_alu instid0(VALU_DEP_1)
	v_dual_fmac_f32 v22, 0x32a5705f, v18 :: v_dual_add_f32 v17, v17, v21
	ds_bpermute_b32 v21, v12, v17
	s_wait_dscnt 0x0
	v_add_f32_e32 v17, v17, v21
	ds_bpermute_b32 v21, v13, v17
	s_wait_dscnt 0x0
	v_add_f32_e32 v17, v17, v21
	ds_bpermute_b32 v21, v14, v17
	s_wait_dscnt 0x0
	v_dual_add_f32 v17, v17, v21 :: v_dual_add_f32 v21, s1, v22
	s_cvt_i32_f32 s1, s30
	s_delay_alu instid0(VALU_DEP_1)
	v_exp_f32_e32 v21, v21
	v_nop
	s_delay_alu instid0(TRANS32_DEP_1) | instid1(SALU_CYCLE_1)
	v_ldexp_f32 v21, v21, s1
	s_delay_alu instid0(VALU_DEP_1) | instskip(SKIP_1) | instid1(VALU_DEP_2)
	v_cndmask_b32_e32 v21, 0, v21, vcc_lo
	v_cmp_nlt_f32_e32 vcc_lo, 0x42b17218, v18
	v_cndmask_b32_e32 v18, 0x7f800000, v21, vcc_lo
	ds_bpermute_b32 v22, v15, v17
	s_wait_dscnt 0x0
	v_dual_mul_f32 v1, v18, v1 :: v_dual_add_f32 v17, v17, v22
	s_wait_loadcnt 0x2
	s_delay_alu instid0(VALU_DEP_1) | instskip(SKIP_1) | instid1(VALU_DEP_1)
	v_fma_f32 v17, -v18, v17, v19
	s_wait_loadcnt 0x1
	v_mul_f32_e32 v17, v20, v17
	s_delay_alu instid0(VALU_DEP_1) | instskip(SKIP_1) | instid1(VALU_DEP_1)
	v_fmac_f32_e32 v1, v2, v17
	s_wait_loadcnt 0x0
	v_fma_f32 v2, v16, v1, 0
	ds_bpermute_b32 v16, v11, v2
	s_wait_dscnt 0x0
	v_add_f32_e32 v2, v2, v16
	ds_bpermute_b32 v16, v12, v2
	s_wait_dscnt 0x0
	v_add_f32_e32 v2, v2, v16
	;; [unrolled: 3-line block ×4, first 2 shown]
	ds_bpermute_b32 v16, v15, v2
	s_and_saveexec_b32 s1, s0
	s_cbranch_execz .LBB13_2
; %bb.4:                                ;   in Loop: Header=BB13_3 Depth=1
	s_wait_dscnt 0x0
	v_add_f32_e32 v2, v2, v16
	s_delay_alu instid0(VALU_DEP_1)
	v_mul_f32_e32 v2, s33, v2
	global_store_b32 v[8:9], v2, off
	s_branch .LBB13_2
.LBB13_5:
	s_mul_u64 s[0:1], s[18:19], s[36:37]
	s_add_nc_u64 s[2:3], s[28:29], s[2:3]
	s_mul_u64 s[0:1], s[0:1], s[38:39]
	v_add_nc_u32_e32 v0, v0, v10
	s_lshl_b64 s[0:1], s[0:1], 7
	s_lshl_b64 s[2:3], s[2:3], 12
	s_add_nc_u64 s[0:1], s[16:17], s[0:1]
	s_delay_alu instid0(SALU_CYCLE_1)
	s_add_nc_u64 s[0:1], s[0:1], s[2:3]
	s_wait_loadcnt 0x0
	global_store_b32 v0, v1, s[0:1] scale_offset
	s_endpgm
	.section	.rodata,"a",@progbits
	.p2align	6, 0x0
	.amdhsa_kernel _Z20gated_delta_net_cudaILi32ELb0ELb0EEvPKfS1_S1_S1_S1_S1_Pfllllllllllll15HIP_vector_typeIjLj3EES4_fi
		.amdhsa_group_segment_fixed_size 0
		.amdhsa_private_segment_fixed_size 0
		.amdhsa_kernarg_size 440
		.amdhsa_user_sgpr_count 2
		.amdhsa_user_sgpr_dispatch_ptr 0
		.amdhsa_user_sgpr_queue_ptr 0
		.amdhsa_user_sgpr_kernarg_segment_ptr 1
		.amdhsa_user_sgpr_dispatch_id 0
		.amdhsa_user_sgpr_kernarg_preload_length 0
		.amdhsa_user_sgpr_kernarg_preload_offset 0
		.amdhsa_user_sgpr_private_segment_size 0
		.amdhsa_wavefront_size32 1
		.amdhsa_uses_dynamic_stack 0
		.amdhsa_enable_private_segment 0
		.amdhsa_system_sgpr_workgroup_id_x 1
		.amdhsa_system_sgpr_workgroup_id_y 1
		.amdhsa_system_sgpr_workgroup_id_z 1
		.amdhsa_system_sgpr_workgroup_info 0
		.amdhsa_system_vgpr_workitem_id 1
		.amdhsa_next_free_vgpr 23
		.amdhsa_next_free_sgpr 60
		.amdhsa_named_barrier_count 0
		.amdhsa_reserve_vcc 1
		.amdhsa_float_round_mode_32 0
		.amdhsa_float_round_mode_16_64 0
		.amdhsa_float_denorm_mode_32 3
		.amdhsa_float_denorm_mode_16_64 3
		.amdhsa_fp16_overflow 0
		.amdhsa_memory_ordered 1
		.amdhsa_forward_progress 1
		.amdhsa_inst_pref_size 10
		.amdhsa_round_robin_scheduling 0
		.amdhsa_exception_fp_ieee_invalid_op 0
		.amdhsa_exception_fp_denorm_src 0
		.amdhsa_exception_fp_ieee_div_zero 0
		.amdhsa_exception_fp_ieee_overflow 0
		.amdhsa_exception_fp_ieee_underflow 0
		.amdhsa_exception_fp_ieee_inexact 0
		.amdhsa_exception_int_div_zero 0
	.end_amdhsa_kernel
	.section	.text._Z20gated_delta_net_cudaILi32ELb0ELb0EEvPKfS1_S1_S1_S1_S1_Pfllllllllllll15HIP_vector_typeIjLj3EES4_fi,"axG",@progbits,_Z20gated_delta_net_cudaILi32ELb0ELb0EEvPKfS1_S1_S1_S1_S1_Pfllllllllllll15HIP_vector_typeIjLj3EES4_fi,comdat
.Lfunc_end13:
	.size	_Z20gated_delta_net_cudaILi32ELb0ELb0EEvPKfS1_S1_S1_S1_S1_Pfllllllllllll15HIP_vector_typeIjLj3EES4_fi, .Lfunc_end13-_Z20gated_delta_net_cudaILi32ELb0ELb0EEvPKfS1_S1_S1_S1_S1_Pfllllllllllll15HIP_vector_typeIjLj3EES4_fi
                                        ; -- End function
	.set _Z20gated_delta_net_cudaILi32ELb0ELb0EEvPKfS1_S1_S1_S1_S1_Pfllllllllllll15HIP_vector_typeIjLj3EES4_fi.num_vgpr, 23
	.set _Z20gated_delta_net_cudaILi32ELb0ELb0EEvPKfS1_S1_S1_S1_S1_Pfllllllllllll15HIP_vector_typeIjLj3EES4_fi.num_agpr, 0
	.set _Z20gated_delta_net_cudaILi32ELb0ELb0EEvPKfS1_S1_S1_S1_S1_Pfllllllllllll15HIP_vector_typeIjLj3EES4_fi.numbered_sgpr, 60
	.set _Z20gated_delta_net_cudaILi32ELb0ELb0EEvPKfS1_S1_S1_S1_S1_Pfllllllllllll15HIP_vector_typeIjLj3EES4_fi.num_named_barrier, 0
	.set _Z20gated_delta_net_cudaILi32ELb0ELb0EEvPKfS1_S1_S1_S1_S1_Pfllllllllllll15HIP_vector_typeIjLj3EES4_fi.private_seg_size, 0
	.set _Z20gated_delta_net_cudaILi32ELb0ELb0EEvPKfS1_S1_S1_S1_S1_Pfllllllllllll15HIP_vector_typeIjLj3EES4_fi.uses_vcc, 1
	.set _Z20gated_delta_net_cudaILi32ELb0ELb0EEvPKfS1_S1_S1_S1_S1_Pfllllllllllll15HIP_vector_typeIjLj3EES4_fi.uses_flat_scratch, 0
	.set _Z20gated_delta_net_cudaILi32ELb0ELb0EEvPKfS1_S1_S1_S1_S1_Pfllllllllllll15HIP_vector_typeIjLj3EES4_fi.has_dyn_sized_stack, 0
	.set _Z20gated_delta_net_cudaILi32ELb0ELb0EEvPKfS1_S1_S1_S1_S1_Pfllllllllllll15HIP_vector_typeIjLj3EES4_fi.has_recursion, 0
	.set _Z20gated_delta_net_cudaILi32ELb0ELb0EEvPKfS1_S1_S1_S1_S1_Pfllllllllllll15HIP_vector_typeIjLj3EES4_fi.has_indirect_call, 0
	.section	.AMDGPU.csdata,"",@progbits
; Kernel info:
; codeLenInByte = 1192
; TotalNumSgprs: 62
; NumVgprs: 23
; ScratchSize: 0
; MemoryBound: 0
; FloatMode: 240
; IeeeMode: 1
; LDSByteSize: 0 bytes/workgroup (compile time only)
; SGPRBlocks: 0
; VGPRBlocks: 1
; NumSGPRsForWavesPerEU: 62
; NumVGPRsForWavesPerEU: 23
; NamedBarCnt: 0
; Occupancy: 16
; WaveLimiterHint : 0
; COMPUTE_PGM_RSRC2:SCRATCH_EN: 0
; COMPUTE_PGM_RSRC2:USER_SGPR: 2
; COMPUTE_PGM_RSRC2:TRAP_HANDLER: 0
; COMPUTE_PGM_RSRC2:TGID_X_EN: 1
; COMPUTE_PGM_RSRC2:TGID_Y_EN: 1
; COMPUTE_PGM_RSRC2:TGID_Z_EN: 1
; COMPUTE_PGM_RSRC2:TIDIG_COMP_CNT: 1
	.section	.text._Z20gated_delta_net_cudaILi64ELb0ELb0EEvPKfS1_S1_S1_S1_S1_Pfllllllllllll15HIP_vector_typeIjLj3EES4_fi,"axG",@progbits,_Z20gated_delta_net_cudaILi64ELb0ELb0EEvPKfS1_S1_S1_S1_S1_Pfllllllllllll15HIP_vector_typeIjLj3EES4_fi,comdat
	.protected	_Z20gated_delta_net_cudaILi64ELb0ELb0EEvPKfS1_S1_S1_S1_S1_Pfllllllllllll15HIP_vector_typeIjLj3EES4_fi ; -- Begin function _Z20gated_delta_net_cudaILi64ELb0ELb0EEvPKfS1_S1_S1_S1_S1_Pfllllllllllll15HIP_vector_typeIjLj3EES4_fi
	.globl	_Z20gated_delta_net_cudaILi64ELb0ELb0EEvPKfS1_S1_S1_S1_S1_Pfllllllllllll15HIP_vector_typeIjLj3EES4_fi
	.p2align	8
	.type	_Z20gated_delta_net_cudaILi64ELb0ELb0EEvPKfS1_S1_S1_S1_S1_Pfllllllllllll15HIP_vector_typeIjLj3EES4_fi,@function
_Z20gated_delta_net_cudaILi64ELb0ELb0EEvPKfS1_S1_S1_S1_S1_Pfllllllllllll15HIP_vector_typeIjLj3EES4_fi: ; @_Z20gated_delta_net_cudaILi64ELb0ELb0EEvPKfS1_S1_S1_S1_S1_Pfllllllllllll15HIP_vector_typeIjLj3EES4_fi
; %bb.0:
	s_load_u16 s3, s[0:1], 0xc6
	s_bfe_u32 s2, ttmp6, 0x40010
	s_and_b32 s20, ttmp7, 0xffff
	s_add_co_i32 s2, s2, 1
	s_bfe_u32 s21, ttmp6, 0x40004
	s_mul_i32 s2, s20, s2
	s_bfe_u32 s23, ttmp6, 0x40014
	s_add_co_i32 s22, s21, s2
	s_bfe_u32 s2, ttmp6, 0x4000c
	s_lshr_b32 s24, ttmp7, 16
	s_add_co_i32 s2, s2, 1
	s_add_co_i32 s23, s23, 1
	s_and_b32 s21, ttmp6, 15
	s_mul_i32 s2, ttmp9, s2
	s_load_b512 s[4:19], s[0:1], 0x0
	s_mul_i32 s23, s24, s23
	s_bfe_u32 s25, ttmp6, 0x40008
	s_add_co_i32 s2, s21, s2
	s_getreg_b32 s21, hwreg(HW_REG_IB_STS2, 6, 4)
	s_add_co_i32 s25, s25, s23
	v_bfe_u32 v1, v0, 10, 10
	s_cmp_eq_u32 s21, 0
	v_and_b32_e32 v10, 0x3ff, v0
	s_cselect_b32 s21, s24, s25
	s_cselect_b32 s30, s20, s22
	s_wait_kmcnt 0x0
	v_mad_u32 v6, s21, s3, v1
	s_mov_b32 s3, 0
	s_cselect_b32 s2, ttmp9, s2
	s_mov_b32 s31, s3
	s_mov_b32 s21, s3
	s_lshl_b32 s20, s2, 12
	v_mov_b32_e32 v5, 0
	s_lshl_b64 s[20:21], s[20:21], 2
	s_load_b512 s[36:51], s[0:1], 0x40
	s_mul_u64 s[28:29], s[18:19], s[30:31]
	v_lshlrev_b32_e32 v4, 2, v10
	v_lshlrev_b32_e32 v0, 6, v6
	s_lshl_b64 s[22:23], s[28:29], 14
	s_delay_alu instid0(SALU_CYCLE_1) | instskip(NEXT) | instid1(VALU_DEP_1)
	s_add_nc_u64 s[14:15], s[14:15], s[22:23]
	v_ashrrev_i32_e32 v1, 31, v0
	s_add_nc_u64 s[14:15], s[14:15], s[20:21]
	s_delay_alu instid0(VALU_DEP_1) | instid1(SALU_CYCLE_1)
	v_lshl_add_u64 v[2:3], v[0:1], 2, s[14:15]
	s_delay_alu instid0(VALU_DEP_1)
	v_add_nc_u64_e32 v[8:9], v[2:3], v[4:5]
	s_clause 0x1
	global_load_b32 v2, v[8:9], off
	global_load_b32 v3, v[8:9], off offset:128
	s_wait_kmcnt 0x0
	v_cmp_lt_i64_e64 s14, s[36:37], 1
	s_and_b32 vcc_lo, exec_lo, s14
	s_cbranch_vccnz .LBB14_5
; %bb.1:
	v_mbcnt_lo_u32_b32 v1, -1, 0
	s_clause 0x4
	s_load_b128 s[24:27], s[0:1], 0x98
	s_load_b128 s[20:23], s[0:1], 0x80
	s_load_b64 s[14:15], s[0:1], 0x90
	s_load_b32 s54, s[0:1], 0xa8
	s_load_b32 s33, s[0:1], 0xb0
	s_wait_xcnt 0x0
	s_mul_u64 s[0:1], s[28:29], s[36:37]
	s_mul_u64 s[50:51], s[50:51], s[30:31]
	s_mov_b32 s53, s3
	v_xor_b32_e32 v8, 8, v1
	v_xor_b32_e32 v7, 16, v1
	;; [unrolled: 1-line block ×3, first 2 shown]
	s_add_nc_u64 s[0:1], s[0:1], s[2:3]
	s_lshl_b64 s[50:51], s[50:51], 2
	s_lshl_b64 s[58:59], s[0:1], 8
	v_cmp_gt_i32_e32 vcc_lo, 32, v7
	s_add_nc_u64 s[0:1], s[8:9], s[50:51]
	s_mov_b32 s35, s3
	s_mul_u64 s[46:47], s[46:47], s[2:3]
	s_mov_b32 s55, s3
	v_cndmask_b32_e32 v11, v1, v7, vcc_lo
	v_cmp_gt_i32_e32 vcc_lo, 32, v8
	v_ashrrev_i32_e32 v7, 31, v6
	s_wait_kmcnt 0x0
	s_mov_b32 s52, s24
	s_mov_b32 s34, s27
	s_mul_u64 s[8:9], s[52:53], s[2:3]
	v_dual_cndmask_b32 v12, v1, v8, vcc_lo :: v_dual_bitop2_b32 v8, 2, v1 bitop3:0x14
	v_cmp_gt_i32_e32 vcc_lo, 32, v9
	s_add_co_i32 s24, s2, s9
	s_mul_u64 s[8:9], s[34:35], s[30:31]
	s_lshr_b32 s8, s24, s25
	s_add_co_i32 s9, s30, s9
	v_cndmask_b32_e32 v14, v1, v9, vcc_lo
	v_cmp_gt_i32_e32 vcc_lo, 32, v8
	v_xor_b32_e32 v13, 1, v1
	s_mul_i32 s8, s8, s26
	s_mov_b32 s57, s3
	s_lshr_b32 s54, s9, s54
	v_cndmask_b32_e32 v15, v1, v8, vcc_lo
	v_cmp_gt_i32_e32 vcc_lo, 32, v13
	v_lshlrev_b64_e32 v[8:9], 2, v[6:7]
	s_sub_co_i32 s56, s2, s8
	s_lshl_b64 s[46:47], s[46:47], 2
	s_mul_u64 s[8:9], s[44:45], s[54:55]
	v_cndmask_b32_e32 v6, v1, v13, vcc_lo
	s_mul_u64 s[24:25], s[40:41], s[56:57]
	s_add_nc_u64 s[0:1], s[0:1], s[46:47]
	s_add_nc_u64 s[26:27], s[16:17], s[58:59]
	s_lshl_b64 s[8:9], s[8:9], 2
	s_lshl_b64 s[24:25], s[24:25], 2
	v_dual_lshlrev_b32 v1, 2, v11 :: v_dual_lshlrev_b32 v11, 2, v12
	v_dual_lshlrev_b32 v12, 2, v14 :: v_dual_lshlrev_b32 v13, 2, v15
	v_lshlrev_b32_e32 v14, 2, v6
	v_add_nc_u64_e32 v[6:7], s[0:1], v[8:9]
	v_add_nc_u64_e32 v[8:9], s[26:27], v[8:9]
	s_mul_u64 s[14:15], s[14:15], s[30:31]
	s_mul_u64 s[20:21], s[20:21], s[2:3]
	s_add_nc_u64 s[8:9], s[8:9], s[24:25]
	v_cmp_eq_u32_e64 s0, 0, v10
	s_add_nc_u64 s[24:25], s[8:9], 0x80
	s_add_nc_u64 s[20:21], s[14:15], s[20:21]
	s_lshl_b64 s[8:9], s[18:19], 8
	s_add_nc_u64 s[4:5], s[4:5], s[24:25]
	s_lshl_b64 s[14:15], s[42:43], 2
	s_lshl_b64 s[20:21], s[20:21], 2
	;; [unrolled: 1-line block ×3, first 2 shown]
	s_add_nc_u64 s[6:7], s[6:7], s[24:25]
	s_lshl_b64 s[24:25], s[48:49], 2
	s_mov_b64 s[26:27], 0
	s_branch .LBB14_3
.LBB14_2:                               ;   in Loop: Header=BB14_3 Depth=1
	s_wait_xcnt 0x0
	s_or_b32 exec_lo, exec_lo, s1
	s_add_nc_u64 s[26:27], s[26:27], 1
	v_add_nc_u64_e32 v[8:9], s[8:9], v[8:9]
	v_cmp_le_i64_e64 s1, s[36:37], s[26:27]
	v_add_nc_u64_e32 v[6:7], s[24:25], v[6:7]
	s_add_nc_u64 s[4:5], s[4:5], s[14:15]
	s_add_nc_u64 s[20:21], s[20:21], s[22:23]
	;; [unrolled: 1-line block ×3, first 2 shown]
	s_and_b32 vcc_lo, exec_lo, s1
	s_cbranch_vccnz .LBB14_5
.LBB14_3:                               ; =>This Inner Loop Header: Depth=1
	s_wait_dscnt 0x0
	v_add_nc_u64_e32 v[16:17], s[6:7], v[4:5]
	s_add_nc_u64 s[30:31], s[10:11], s[20:21]
	s_clause 0x1
	global_load_b32 v18, v[16:17], off offset:-128
	global_load_b32 v19, v[16:17], off
	global_load_b32 v15, v5, s[30:31]
	global_load_b32 v20, v[6:7], off
	s_wait_xcnt 0x1
	s_add_nc_u64 s[30:31], s[12:13], s[20:21]
	v_add_nc_u64_e32 v[16:17], s[4:5], v[4:5]
	global_load_b32 v21, v5, s[30:31]
	s_clause 0x1
	global_load_b32 v22, v[16:17], off offset:-128
	global_load_b32 v23, v[16:17], off
	s_wait_loadcnt 0x4
	v_readfirstlane_b32 s1, v15
	s_wait_xcnt 0x0
	v_pk_mul_f32 v[16:17], v[2:3], v[18:19]
	v_cmp_ngt_f32_e32 vcc_lo, 0xc2ce8ed0, v15
	s_mul_f32 s1, s1, 0x3fb8aa3b
	s_delay_alu instid0(VALU_DEP_2) | instskip(NEXT) | instid1(SALU_CYCLE_2)
	v_add_f32_e32 v16, 0, v16
	s_xor_b32 s30, s1, 0x80000000
	s_delay_alu instid0(VALU_DEP_1)
	v_add_f32_e32 v16, v16, v17
	v_fma_f32 v24, 0x3fb8aa3b, v15, s30
	s_rndne_f32 s30, s1
	ds_bpermute_b32 v17, v1, v16
	s_sub_f32 s1, s1, s30
	s_wait_dscnt 0x0
	v_add_f32_e32 v16, v16, v17
	ds_bpermute_b32 v17, v11, v16
	s_wait_dscnt 0x0
	v_add_f32_e32 v16, v16, v17
	ds_bpermute_b32 v17, v12, v16
	;; [unrolled: 3-line block ×3, first 2 shown]
	s_wait_dscnt 0x0
	v_dual_fmac_f32 v24, 0x32a5705f, v15 :: v_dual_add_f32 v17, v16, v17
	s_delay_alu instid0(VALU_DEP_1) | instskip(SKIP_4) | instid1(TRANS32_DEP_1)
	v_add_f32_e32 v16, s1, v24
	s_cvt_i32_f32 s1, s30
	ds_bpermute_b32 v24, v14, v17
	v_exp_f32_e32 v16, v16
	v_nop
	v_ldexp_f32 v16, v16, s1
	s_delay_alu instid0(VALU_DEP_1) | instskip(SKIP_1) | instid1(VALU_DEP_2)
	v_cndmask_b32_e32 v16, 0, v16, vcc_lo
	v_cmp_nlt_f32_e32 vcc_lo, 0x42b17218, v15
	v_cndmask_b32_e32 v16, 0x7f800000, v16, vcc_lo
	s_wait_dscnt 0x0
	s_delay_alu instid0(VALU_DEP_1) | instskip(SKIP_1) | instid1(VALU_DEP_1)
	v_dual_add_f32 v15, v17, v24 :: v_dual_mul_f32 v2, v16, v2
	s_wait_loadcnt 0x3
	v_fma_f32 v15, -v16, v15, v20
	s_wait_loadcnt 0x2
	s_delay_alu instid0(VALU_DEP_1) | instskip(NEXT) | instid1(VALU_DEP_1)
	v_mul_f32_e32 v17, v21, v15
	v_dual_mul_f32 v20, v17, v18 :: v_dual_mov_b32 v18, v3
	s_delay_alu instid0(VALU_DEP_1) | instskip(NEXT) | instid1(VALU_DEP_1)
	v_pk_mul_f32 v[18:19], v[16:17], v[18:19]
	v_dual_mov_b32 v3, v18 :: v_dual_mov_b32 v21, v19
	s_delay_alu instid0(VALU_DEP_1) | instskip(SKIP_1) | instid1(VALU_DEP_1)
	v_pk_add_f32 v[2:3], v[2:3], v[20:21]
	s_wait_loadcnt 0x1
	v_fma_f32 v15, v22, v2, 0
	s_wait_loadcnt 0x0
	s_delay_alu instid0(VALU_DEP_1)
	v_fmac_f32_e32 v15, v23, v3
	ds_bpermute_b32 v16, v1, v15
	s_wait_dscnt 0x0
	v_add_f32_e32 v15, v15, v16
	ds_bpermute_b32 v16, v11, v15
	s_wait_dscnt 0x0
	v_add_f32_e32 v15, v15, v16
	;; [unrolled: 3-line block ×4, first 2 shown]
	ds_bpermute_b32 v16, v14, v15
	s_and_saveexec_b32 s1, s0
	s_cbranch_execz .LBB14_2
; %bb.4:                                ;   in Loop: Header=BB14_3 Depth=1
	s_wait_dscnt 0x0
	v_add_f32_e32 v15, v15, v16
	s_delay_alu instid0(VALU_DEP_1)
	v_mul_f32_e32 v15, s33, v15
	global_store_b32 v[8:9], v15, off
	s_branch .LBB14_2
.LBB14_5:
	s_mul_u64 s[0:1], s[18:19], s[36:37]
	s_add_nc_u64 s[2:3], s[28:29], s[2:3]
	s_mul_u64 s[0:1], s[0:1], s[38:39]
	v_add_nc_u32_e32 v0, v0, v10
	s_lshl_b64 s[0:1], s[0:1], 8
	s_lshl_b64 s[2:3], s[2:3], 14
	s_add_nc_u64 s[0:1], s[16:17], s[0:1]
	s_delay_alu instid0(SALU_CYCLE_1)
	s_add_nc_u64 s[0:1], s[0:1], s[2:3]
	s_wait_loadcnt 0x1
	global_store_b32 v0, v2, s[0:1] scale_offset
	s_wait_loadcnt 0x0
	global_store_b32 v0, v3, s[0:1] offset:128 scale_offset
	s_endpgm
	.section	.rodata,"a",@progbits
	.p2align	6, 0x0
	.amdhsa_kernel _Z20gated_delta_net_cudaILi64ELb0ELb0EEvPKfS1_S1_S1_S1_S1_Pfllllllllllll15HIP_vector_typeIjLj3EES4_fi
		.amdhsa_group_segment_fixed_size 0
		.amdhsa_private_segment_fixed_size 0
		.amdhsa_kernarg_size 440
		.amdhsa_user_sgpr_count 2
		.amdhsa_user_sgpr_dispatch_ptr 0
		.amdhsa_user_sgpr_queue_ptr 0
		.amdhsa_user_sgpr_kernarg_segment_ptr 1
		.amdhsa_user_sgpr_dispatch_id 0
		.amdhsa_user_sgpr_kernarg_preload_length 0
		.amdhsa_user_sgpr_kernarg_preload_offset 0
		.amdhsa_user_sgpr_private_segment_size 0
		.amdhsa_wavefront_size32 1
		.amdhsa_uses_dynamic_stack 0
		.amdhsa_enable_private_segment 0
		.amdhsa_system_sgpr_workgroup_id_x 1
		.amdhsa_system_sgpr_workgroup_id_y 1
		.amdhsa_system_sgpr_workgroup_id_z 1
		.amdhsa_system_sgpr_workgroup_info 0
		.amdhsa_system_vgpr_workitem_id 1
		.amdhsa_next_free_vgpr 25
		.amdhsa_next_free_sgpr 60
		.amdhsa_named_barrier_count 0
		.amdhsa_reserve_vcc 1
		.amdhsa_float_round_mode_32 0
		.amdhsa_float_round_mode_16_64 0
		.amdhsa_float_denorm_mode_32 3
		.amdhsa_float_denorm_mode_16_64 3
		.amdhsa_fp16_overflow 0
		.amdhsa_memory_ordered 1
		.amdhsa_forward_progress 1
		.amdhsa_inst_pref_size 11
		.amdhsa_round_robin_scheduling 0
		.amdhsa_exception_fp_ieee_invalid_op 0
		.amdhsa_exception_fp_denorm_src 0
		.amdhsa_exception_fp_ieee_div_zero 0
		.amdhsa_exception_fp_ieee_overflow 0
		.amdhsa_exception_fp_ieee_underflow 0
		.amdhsa_exception_fp_ieee_inexact 0
		.amdhsa_exception_int_div_zero 0
	.end_amdhsa_kernel
	.section	.text._Z20gated_delta_net_cudaILi64ELb0ELb0EEvPKfS1_S1_S1_S1_S1_Pfllllllllllll15HIP_vector_typeIjLj3EES4_fi,"axG",@progbits,_Z20gated_delta_net_cudaILi64ELb0ELb0EEvPKfS1_S1_S1_S1_S1_Pfllllllllllll15HIP_vector_typeIjLj3EES4_fi,comdat
.Lfunc_end14:
	.size	_Z20gated_delta_net_cudaILi64ELb0ELb0EEvPKfS1_S1_S1_S1_S1_Pfllllllllllll15HIP_vector_typeIjLj3EES4_fi, .Lfunc_end14-_Z20gated_delta_net_cudaILi64ELb0ELb0EEvPKfS1_S1_S1_S1_S1_Pfllllllllllll15HIP_vector_typeIjLj3EES4_fi
                                        ; -- End function
	.set _Z20gated_delta_net_cudaILi64ELb0ELb0EEvPKfS1_S1_S1_S1_S1_Pfllllllllllll15HIP_vector_typeIjLj3EES4_fi.num_vgpr, 25
	.set _Z20gated_delta_net_cudaILi64ELb0ELb0EEvPKfS1_S1_S1_S1_S1_Pfllllllllllll15HIP_vector_typeIjLj3EES4_fi.num_agpr, 0
	.set _Z20gated_delta_net_cudaILi64ELb0ELb0EEvPKfS1_S1_S1_S1_S1_Pfllllllllllll15HIP_vector_typeIjLj3EES4_fi.numbered_sgpr, 60
	.set _Z20gated_delta_net_cudaILi64ELb0ELb0EEvPKfS1_S1_S1_S1_S1_Pfllllllllllll15HIP_vector_typeIjLj3EES4_fi.num_named_barrier, 0
	.set _Z20gated_delta_net_cudaILi64ELb0ELb0EEvPKfS1_S1_S1_S1_S1_Pfllllllllllll15HIP_vector_typeIjLj3EES4_fi.private_seg_size, 0
	.set _Z20gated_delta_net_cudaILi64ELb0ELb0EEvPKfS1_S1_S1_S1_S1_Pfllllllllllll15HIP_vector_typeIjLj3EES4_fi.uses_vcc, 1
	.set _Z20gated_delta_net_cudaILi64ELb0ELb0EEvPKfS1_S1_S1_S1_S1_Pfllllllllllll15HIP_vector_typeIjLj3EES4_fi.uses_flat_scratch, 0
	.set _Z20gated_delta_net_cudaILi64ELb0ELb0EEvPKfS1_S1_S1_S1_S1_Pfllllllllllll15HIP_vector_typeIjLj3EES4_fi.has_dyn_sized_stack, 0
	.set _Z20gated_delta_net_cudaILi64ELb0ELb0EEvPKfS1_S1_S1_S1_S1_Pfllllllllllll15HIP_vector_typeIjLj3EES4_fi.has_recursion, 0
	.set _Z20gated_delta_net_cudaILi64ELb0ELb0EEvPKfS1_S1_S1_S1_S1_Pfllllllllllll15HIP_vector_typeIjLj3EES4_fi.has_indirect_call, 0
	.section	.AMDGPU.csdata,"",@progbits
; Kernel info:
; codeLenInByte = 1308
; TotalNumSgprs: 62
; NumVgprs: 25
; ScratchSize: 0
; MemoryBound: 0
; FloatMode: 240
; IeeeMode: 1
; LDSByteSize: 0 bytes/workgroup (compile time only)
; SGPRBlocks: 0
; VGPRBlocks: 1
; NumSGPRsForWavesPerEU: 62
; NumVGPRsForWavesPerEU: 25
; NamedBarCnt: 0
; Occupancy: 16
; WaveLimiterHint : 1
; COMPUTE_PGM_RSRC2:SCRATCH_EN: 0
; COMPUTE_PGM_RSRC2:USER_SGPR: 2
; COMPUTE_PGM_RSRC2:TRAP_HANDLER: 0
; COMPUTE_PGM_RSRC2:TGID_X_EN: 1
; COMPUTE_PGM_RSRC2:TGID_Y_EN: 1
; COMPUTE_PGM_RSRC2:TGID_Z_EN: 1
; COMPUTE_PGM_RSRC2:TIDIG_COMP_CNT: 1
	.section	.text._Z20gated_delta_net_cudaILi128ELb0ELb0EEvPKfS1_S1_S1_S1_S1_Pfllllllllllll15HIP_vector_typeIjLj3EES4_fi,"axG",@progbits,_Z20gated_delta_net_cudaILi128ELb0ELb0EEvPKfS1_S1_S1_S1_S1_Pfllllllllllll15HIP_vector_typeIjLj3EES4_fi,comdat
	.protected	_Z20gated_delta_net_cudaILi128ELb0ELb0EEvPKfS1_S1_S1_S1_S1_Pfllllllllllll15HIP_vector_typeIjLj3EES4_fi ; -- Begin function _Z20gated_delta_net_cudaILi128ELb0ELb0EEvPKfS1_S1_S1_S1_S1_Pfllllllllllll15HIP_vector_typeIjLj3EES4_fi
	.globl	_Z20gated_delta_net_cudaILi128ELb0ELb0EEvPKfS1_S1_S1_S1_S1_Pfllllllllllll15HIP_vector_typeIjLj3EES4_fi
	.p2align	8
	.type	_Z20gated_delta_net_cudaILi128ELb0ELb0EEvPKfS1_S1_S1_S1_S1_Pfllllllllllll15HIP_vector_typeIjLj3EES4_fi,@function
_Z20gated_delta_net_cudaILi128ELb0ELb0EEvPKfS1_S1_S1_S1_S1_Pfllllllllllll15HIP_vector_typeIjLj3EES4_fi: ; @_Z20gated_delta_net_cudaILi128ELb0ELb0EEvPKfS1_S1_S1_S1_S1_Pfllllllllllll15HIP_vector_typeIjLj3EES4_fi
; %bb.0:
	s_load_u16 s3, s[0:1], 0xc6
	s_bfe_u32 s2, ttmp6, 0x40010
	s_and_b32 s20, ttmp7, 0xffff
	s_add_co_i32 s2, s2, 1
	s_bfe_u32 s21, ttmp6, 0x40004
	s_mul_i32 s2, s20, s2
	s_bfe_u32 s23, ttmp6, 0x40014
	s_add_co_i32 s22, s21, s2
	s_bfe_u32 s2, ttmp6, 0x4000c
	s_lshr_b32 s24, ttmp7, 16
	s_add_co_i32 s2, s2, 1
	s_add_co_i32 s23, s23, 1
	s_and_b32 s21, ttmp6, 15
	s_mul_i32 s2, ttmp9, s2
	s_load_b512 s[4:19], s[0:1], 0x0
	s_mul_i32 s23, s24, s23
	s_bfe_u32 s25, ttmp6, 0x40008
	s_add_co_i32 s2, s21, s2
	s_getreg_b32 s21, hwreg(HW_REG_IB_STS2, 6, 4)
	s_add_co_i32 s25, s25, s23
	v_bfe_u32 v1, v0, 10, 10
	s_cmp_eq_u32 s21, 0
	v_and_b32_e32 v12, 0x3ff, v0
	s_cselect_b32 s21, s24, s25
	s_cselect_b32 s30, s20, s22
	s_wait_kmcnt 0x0
	v_mad_u32 v8, s21, s3, v1
	s_mov_b32 s3, 0
	s_cselect_b32 s2, ttmp9, s2
	s_mov_b32 s31, s3
	s_mov_b32 s21, s3
	s_lshl_b32 s20, s2, 14
	v_mov_b32_e32 v7, 0
	s_lshl_b64 s[20:21], s[20:21], 2
	v_lshlrev_b32_e32 v6, 2, v12
	s_mul_u64 s[28:29], s[18:19], s[30:31]
	s_load_b512 s[36:51], s[0:1], 0x40
	v_lshlrev_b32_e32 v0, 7, v8
	s_lshl_b64 s[22:23], s[28:29], 16
	s_delay_alu instid0(SALU_CYCLE_1) | instskip(NEXT) | instid1(VALU_DEP_1)
	s_add_nc_u64 s[14:15], s[14:15], s[22:23]
	v_ashrrev_i32_e32 v1, 31, v0
	s_add_nc_u64 s[14:15], s[14:15], s[20:21]
	s_delay_alu instid0(VALU_DEP_1) | instid1(SALU_CYCLE_1)
	v_lshl_add_u64 v[2:3], v[0:1], 2, s[14:15]
	s_delay_alu instid0(VALU_DEP_1)
	v_add_nc_u64_e32 v[10:11], v[2:3], v[6:7]
	s_clause 0x3
	global_load_b32 v2, v[10:11], off
	global_load_b32 v3, v[10:11], off offset:128
	global_load_b32 v4, v[10:11], off offset:256
	;; [unrolled: 1-line block ×3, first 2 shown]
	s_wait_kmcnt 0x0
	v_cmp_lt_i64_e64 s14, s[36:37], 1
	s_and_b32 vcc_lo, exec_lo, s14
	s_cbranch_vccnz .LBB15_5
; %bb.1:
	v_mbcnt_lo_u32_b32 v1, -1, 0
	s_clause 0x4
	s_load_b128 s[24:27], s[0:1], 0x98
	s_load_b128 s[20:23], s[0:1], 0x80
	s_load_b64 s[14:15], s[0:1], 0x90
	s_load_b32 s54, s[0:1], 0xa8
	s_load_b32 s33, s[0:1], 0xb0
	s_mul_u64 s[50:51], s[50:51], s[30:31]
	s_mov_b32 s53, s3
	s_lshl_b64 s[50:51], s[50:51], 2
	v_xor_b32_e32 v10, 8, v1
	v_xor_b32_e32 v9, 16, v1
	v_xor_b32_e32 v11, 4, v1
	s_mov_b32 s35, s3
	s_add_nc_u64 s[8:9], s[8:9], s[50:51]
	s_wait_xcnt 0x0
	s_mul_u64 s[0:1], s[28:29], s[36:37]
	v_cmp_gt_i32_e32 vcc_lo, 32, v9
	s_mul_u64 s[46:47], s[46:47], s[2:3]
	s_add_nc_u64 s[0:1], s[0:1], s[2:3]
	s_lshl_b64 s[46:47], s[46:47], 2
	s_lshl_b64 s[0:1], s[0:1], 9
	v_dual_cndmask_b32 v13, v1, v9, vcc_lo :: v_dual_ashrrev_i32 v9, 31, v8
	v_cmp_gt_i32_e32 vcc_lo, 32, v10
	s_wait_kmcnt 0x0
	s_mov_b32 s52, s24
	s_mov_b32 s34, s27
	s_mul_u64 s[50:51], s[52:53], s[2:3]
	s_mul_u64 s[34:35], s[34:35], s[30:31]
	v_dual_cndmask_b32 v14, v1, v10, vcc_lo :: v_dual_bitop2_b32 v15, 1, v1 bitop3:0x14
	v_xor_b32_e32 v10, 2, v1
	v_cmp_gt_i32_e32 vcc_lo, 32, v11
	s_add_co_i32 s24, s2, s51
	s_add_co_i32 s27, s30, s35
	s_lshr_b32 s24, s24, s25
	s_add_nc_u64 s[8:9], s[8:9], s[46:47]
	v_cndmask_b32_e32 v16, v1, v11, vcc_lo
	v_cmp_gt_i32_e32 vcc_lo, 32, v10
	s_mov_b32 s55, s3
	s_lshr_b32 s54, s27, s54
	s_mul_i32 s26, s24, s26
	s_mov_b32 s57, s3
	v_cndmask_b32_e32 v17, v1, v10, vcc_lo
	v_cmp_gt_i32_e32 vcc_lo, 32, v15
	v_lshlrev_b64_e32 v[10:11], 2, v[8:9]
	s_mul_u64 s[24:25], s[44:45], s[54:55]
	s_sub_co_i32 s56, s2, s26
	s_lshl_b64 s[24:25], s[24:25], 2
	v_dual_cndmask_b32 v8, v1, v15 :: v_dual_lshlrev_b32 v1, 2, v13
	v_dual_lshlrev_b32 v13, 2, v14 :: v_dual_lshlrev_b32 v14, 2, v16
	s_delay_alu instid0(VALU_DEP_2)
	v_dual_lshlrev_b32 v15, 2, v17 :: v_dual_lshlrev_b32 v16, 2, v8
	v_add_nc_u64_e32 v[8:9], s[8:9], v[10:11]
	s_add_nc_u64 s[8:9], s[16:17], s[0:1]
	s_mul_u64 s[26:27], s[40:41], s[56:57]
	v_add_nc_u64_e32 v[10:11], s[8:9], v[10:11]
	s_mul_u64 s[14:15], s[14:15], s[30:31]
	s_mul_u64 s[20:21], s[20:21], s[2:3]
	v_cmp_eq_u32_e64 s0, 0, v12
	s_add_nc_u64 s[4:5], s[4:5], s[24:25]
	s_lshl_b64 s[26:27], s[26:27], 2
	s_add_nc_u64 s[6:7], s[6:7], s[24:25]
	s_add_nc_u64 s[20:21], s[14:15], s[20:21]
	;; [unrolled: 1-line block ×4, first 2 shown]
	s_lshl_b64 s[8:9], s[18:19], 9
	s_lshl_b64 s[14:15], s[42:43], 2
	;; [unrolled: 1-line block ×5, first 2 shown]
	s_mov_b64 s[26:27], 0
	s_branch .LBB15_3
.LBB15_2:                               ;   in Loop: Header=BB15_3 Depth=1
	s_wait_xcnt 0x0
	s_or_b32 exec_lo, exec_lo, s1
	s_add_nc_u64 s[26:27], s[26:27], 1
	v_add_nc_u64_e32 v[10:11], s[8:9], v[10:11]
	v_cmp_le_i64_e64 s1, s[36:37], s[26:27]
	v_add_nc_u64_e32 v[8:9], s[24:25], v[8:9]
	s_add_nc_u64 s[4:5], s[4:5], s[14:15]
	s_add_nc_u64 s[20:21], s[20:21], s[22:23]
	;; [unrolled: 1-line block ×3, first 2 shown]
	s_and_b32 vcc_lo, exec_lo, s1
	s_cbranch_vccnz .LBB15_5
.LBB15_3:                               ; =>This Inner Loop Header: Depth=1
	s_wait_dscnt 0x0
	v_add_nc_u64_e32 v[18:19], s[6:7], v[6:7]
	s_add_nc_u64 s[30:31], s[10:11], s[20:21]
	s_clause 0x3
	global_load_b32 v20, v[18:19], off
	global_load_b32 v21, v[18:19], off offset:128
	global_load_b32 v22, v[18:19], off offset:256
	;; [unrolled: 1-line block ×3, first 2 shown]
	global_load_b32 v17, v7, s[30:31]
	global_load_b32 v26, v[8:9], off
	s_wait_xcnt 0x1
	s_add_nc_u64 s[30:31], s[12:13], s[20:21]
	v_add_nc_u64_e32 v[18:19], s[4:5], v[6:7]
	global_load_b32 v27, v7, s[30:31]
	s_clause 0x3
	global_load_b32 v28, v[18:19], off
	global_load_b32 v29, v[18:19], off offset:128
	global_load_b32 v30, v[18:19], off offset:256
	;; [unrolled: 1-line block ×3, first 2 shown]
	s_wait_loadcnt 0x9
	s_wait_xcnt 0x0
	v_pk_mul_f32 v[18:19], v[2:3], v[20:21]
	s_wait_loadcnt 0x6
	v_readfirstlane_b32 s1, v17
	v_pk_mul_f32 v[24:25], v[4:5], v[22:23]
	v_cmp_ngt_f32_e32 vcc_lo, 0xc2ce8ed0, v17
	v_add_f32_e32 v18, 0, v18
	s_mul_f32 s1, s1, 0x3fb8aa3b
	s_delay_alu instid0(VALU_DEP_1) | instskip(NEXT) | instid1(SALU_CYCLE_2)
	v_add_f32_e32 v18, v18, v19
	s_xor_b32 s30, s1, 0x80000000
	s_delay_alu instid0(VALU_DEP_1) | instskip(SKIP_2) | instid1(VALU_DEP_2)
	v_add_f32_e32 v18, v18, v24
	v_fma_f32 v24, 0x3fb8aa3b, v17, s30
	s_rndne_f32 s30, s1
	v_add_f32_e32 v18, v18, v25
	s_delay_alu instid0(SALU_CYCLE_2)
	s_sub_f32 s1, s1, s30
	ds_bpermute_b32 v19, v1, v18
	s_wait_dscnt 0x0
	v_add_f32_e32 v18, v18, v19
	ds_bpermute_b32 v19, v13, v18
	s_wait_dscnt 0x0
	v_add_f32_e32 v18, v18, v19
	;; [unrolled: 3-line block ×3, first 2 shown]
	ds_bpermute_b32 v19, v15, v18
	s_wait_dscnt 0x0
	v_dual_fmac_f32 v24, 0x32a5705f, v17 :: v_dual_add_f32 v19, v18, v19
	s_delay_alu instid0(VALU_DEP_1) | instskip(SKIP_4) | instid1(TRANS32_DEP_1)
	v_add_f32_e32 v18, s1, v24
	s_cvt_i32_f32 s1, s30
	ds_bpermute_b32 v24, v16, v19
	v_exp_f32_e32 v18, v18
	v_nop
	v_ldexp_f32 v18, v18, s1
	s_delay_alu instid0(VALU_DEP_1) | instskip(SKIP_2) | instid1(VALU_DEP_2)
	v_cndmask_b32_e32 v18, 0, v18, vcc_lo
	v_cmp_nlt_f32_e32 vcc_lo, 0x42b17218, v17
	s_wait_dscnt 0x0
	v_dual_cndmask_b32 v18, 0x7f800000, v18 :: v_dual_add_f32 v17, v19, v24
	s_wait_loadcnt 0x5
	s_delay_alu instid0(VALU_DEP_1) | instskip(SKIP_1) | instid1(VALU_DEP_1)
	v_dual_mul_f32 v4, v18, v4 :: v_dual_fma_f32 v17, -v18, v17, v26
	s_wait_loadcnt 0x4
	v_mul_f32_e32 v24, v27, v17
	s_delay_alu instid0(VALU_DEP_1) | instskip(SKIP_1) | instid1(VALU_DEP_2)
	v_pk_mul_f32 v[20:21], v[24:25], v[20:21] op_sel_hi:[0,1]
	v_dual_mul_f32 v26, v24, v22 :: v_dual_mov_b32 v22, v5
	v_pk_fma_f32 v[2:3], v[18:19], v[2:3], v[20:21] op_sel_hi:[0,1,1]
	v_mov_b32_e32 v19, v24
	s_wait_loadcnt 0x3
	s_delay_alu instid0(VALU_DEP_2) | instskip(NEXT) | instid1(VALU_DEP_2)
	v_fma_f32 v17, v28, v2, 0
	v_pk_mul_f32 v[20:21], v[18:19], v[22:23]
	s_wait_loadcnt 0x2
	s_delay_alu instid0(VALU_DEP_1) | instskip(NEXT) | instid1(VALU_DEP_2)
	v_dual_fmac_f32 v17, v29, v3 :: v_dual_mov_b32 v5, v20
	v_mov_b32_e32 v27, v21
	s_delay_alu instid0(VALU_DEP_1) | instskip(SKIP_1) | instid1(VALU_DEP_1)
	v_pk_add_f32 v[4:5], v[4:5], v[26:27]
	s_wait_loadcnt 0x1
	v_fmac_f32_e32 v17, v30, v4
	s_wait_loadcnt 0x0
	s_delay_alu instid0(VALU_DEP_1)
	v_fmac_f32_e32 v17, v31, v5
	ds_bpermute_b32 v18, v1, v17
	s_wait_dscnt 0x0
	v_add_f32_e32 v17, v17, v18
	ds_bpermute_b32 v18, v13, v17
	s_wait_dscnt 0x0
	v_add_f32_e32 v17, v17, v18
	;; [unrolled: 3-line block ×4, first 2 shown]
	ds_bpermute_b32 v18, v16, v17
	s_and_saveexec_b32 s1, s0
	s_cbranch_execz .LBB15_2
; %bb.4:                                ;   in Loop: Header=BB15_3 Depth=1
	s_wait_dscnt 0x0
	v_add_f32_e32 v17, v17, v18
	s_delay_alu instid0(VALU_DEP_1)
	v_mul_f32_e32 v17, s33, v17
	global_store_b32 v[10:11], v17, off
	s_branch .LBB15_2
.LBB15_5:
	s_mul_u64 s[0:1], s[18:19], s[36:37]
	s_add_nc_u64 s[2:3], s[28:29], s[2:3]
	s_mul_u64 s[0:1], s[0:1], s[38:39]
	v_add_nc_u32_e32 v0, v0, v12
	s_lshl_b64 s[0:1], s[0:1], 9
	s_lshl_b64 s[2:3], s[2:3], 16
	s_add_nc_u64 s[0:1], s[16:17], s[0:1]
	s_delay_alu instid0(SALU_CYCLE_1)
	s_add_nc_u64 s[0:1], s[0:1], s[2:3]
	s_wait_loadcnt 0x3
	global_store_b32 v0, v2, s[0:1] scale_offset
	s_wait_loadcnt 0x2
	global_store_b32 v0, v3, s[0:1] offset:128 scale_offset
	s_wait_loadcnt 0x1
	global_store_b32 v0, v4, s[0:1] offset:256 scale_offset
	;; [unrolled: 2-line block ×3, first 2 shown]
	s_endpgm
	.section	.rodata,"a",@progbits
	.p2align	6, 0x0
	.amdhsa_kernel _Z20gated_delta_net_cudaILi128ELb0ELb0EEvPKfS1_S1_S1_S1_S1_Pfllllllllllll15HIP_vector_typeIjLj3EES4_fi
		.amdhsa_group_segment_fixed_size 0
		.amdhsa_private_segment_fixed_size 0
		.amdhsa_kernarg_size 440
		.amdhsa_user_sgpr_count 2
		.amdhsa_user_sgpr_dispatch_ptr 0
		.amdhsa_user_sgpr_queue_ptr 0
		.amdhsa_user_sgpr_kernarg_segment_ptr 1
		.amdhsa_user_sgpr_dispatch_id 0
		.amdhsa_user_sgpr_kernarg_preload_length 0
		.amdhsa_user_sgpr_kernarg_preload_offset 0
		.amdhsa_user_sgpr_private_segment_size 0
		.amdhsa_wavefront_size32 1
		.amdhsa_uses_dynamic_stack 0
		.amdhsa_enable_private_segment 0
		.amdhsa_system_sgpr_workgroup_id_x 1
		.amdhsa_system_sgpr_workgroup_id_y 1
		.amdhsa_system_sgpr_workgroup_id_z 1
		.amdhsa_system_sgpr_workgroup_info 0
		.amdhsa_system_vgpr_workitem_id 1
		.amdhsa_next_free_vgpr 32
		.amdhsa_next_free_sgpr 58
		.amdhsa_named_barrier_count 0
		.amdhsa_reserve_vcc 1
		.amdhsa_float_round_mode_32 0
		.amdhsa_float_round_mode_16_64 0
		.amdhsa_float_denorm_mode_32 3
		.amdhsa_float_denorm_mode_16_64 3
		.amdhsa_fp16_overflow 0
		.amdhsa_memory_ordered 1
		.amdhsa_forward_progress 1
		.amdhsa_inst_pref_size 12
		.amdhsa_round_robin_scheduling 0
		.amdhsa_exception_fp_ieee_invalid_op 0
		.amdhsa_exception_fp_denorm_src 0
		.amdhsa_exception_fp_ieee_div_zero 0
		.amdhsa_exception_fp_ieee_overflow 0
		.amdhsa_exception_fp_ieee_underflow 0
		.amdhsa_exception_fp_ieee_inexact 0
		.amdhsa_exception_int_div_zero 0
	.end_amdhsa_kernel
	.section	.text._Z20gated_delta_net_cudaILi128ELb0ELb0EEvPKfS1_S1_S1_S1_S1_Pfllllllllllll15HIP_vector_typeIjLj3EES4_fi,"axG",@progbits,_Z20gated_delta_net_cudaILi128ELb0ELb0EEvPKfS1_S1_S1_S1_S1_Pfllllllllllll15HIP_vector_typeIjLj3EES4_fi,comdat
.Lfunc_end15:
	.size	_Z20gated_delta_net_cudaILi128ELb0ELb0EEvPKfS1_S1_S1_S1_S1_Pfllllllllllll15HIP_vector_typeIjLj3EES4_fi, .Lfunc_end15-_Z20gated_delta_net_cudaILi128ELb0ELb0EEvPKfS1_S1_S1_S1_S1_Pfllllllllllll15HIP_vector_typeIjLj3EES4_fi
                                        ; -- End function
	.set _Z20gated_delta_net_cudaILi128ELb0ELb0EEvPKfS1_S1_S1_S1_S1_Pfllllllllllll15HIP_vector_typeIjLj3EES4_fi.num_vgpr, 32
	.set _Z20gated_delta_net_cudaILi128ELb0ELb0EEvPKfS1_S1_S1_S1_S1_Pfllllllllllll15HIP_vector_typeIjLj3EES4_fi.num_agpr, 0
	.set _Z20gated_delta_net_cudaILi128ELb0ELb0EEvPKfS1_S1_S1_S1_S1_Pfllllllllllll15HIP_vector_typeIjLj3EES4_fi.numbered_sgpr, 58
	.set _Z20gated_delta_net_cudaILi128ELb0ELb0EEvPKfS1_S1_S1_S1_S1_Pfllllllllllll15HIP_vector_typeIjLj3EES4_fi.num_named_barrier, 0
	.set _Z20gated_delta_net_cudaILi128ELb0ELb0EEvPKfS1_S1_S1_S1_S1_Pfllllllllllll15HIP_vector_typeIjLj3EES4_fi.private_seg_size, 0
	.set _Z20gated_delta_net_cudaILi128ELb0ELb0EEvPKfS1_S1_S1_S1_S1_Pfllllllllllll15HIP_vector_typeIjLj3EES4_fi.uses_vcc, 1
	.set _Z20gated_delta_net_cudaILi128ELb0ELb0EEvPKfS1_S1_S1_S1_S1_Pfllllllllllll15HIP_vector_typeIjLj3EES4_fi.uses_flat_scratch, 0
	.set _Z20gated_delta_net_cudaILi128ELb0ELb0EEvPKfS1_S1_S1_S1_S1_Pfllllllllllll15HIP_vector_typeIjLj3EES4_fi.has_dyn_sized_stack, 0
	.set _Z20gated_delta_net_cudaILi128ELb0ELb0EEvPKfS1_S1_S1_S1_S1_Pfllllllllllll15HIP_vector_typeIjLj3EES4_fi.has_recursion, 0
	.set _Z20gated_delta_net_cudaILi128ELb0ELb0EEvPKfS1_S1_S1_S1_S1_Pfllllllllllll15HIP_vector_typeIjLj3EES4_fi.has_indirect_call, 0
	.section	.AMDGPU.csdata,"",@progbits
; Kernel info:
; codeLenInByte = 1480
; TotalNumSgprs: 60
; NumVgprs: 32
; ScratchSize: 0
; MemoryBound: 0
; FloatMode: 240
; IeeeMode: 1
; LDSByteSize: 0 bytes/workgroup (compile time only)
; SGPRBlocks: 0
; VGPRBlocks: 1
; NumSGPRsForWavesPerEU: 60
; NumVGPRsForWavesPerEU: 32
; NamedBarCnt: 0
; Occupancy: 16
; WaveLimiterHint : 1
; COMPUTE_PGM_RSRC2:SCRATCH_EN: 0
; COMPUTE_PGM_RSRC2:USER_SGPR: 2
; COMPUTE_PGM_RSRC2:TRAP_HANDLER: 0
; COMPUTE_PGM_RSRC2:TGID_X_EN: 1
; COMPUTE_PGM_RSRC2:TGID_Y_EN: 1
; COMPUTE_PGM_RSRC2:TGID_Z_EN: 1
; COMPUTE_PGM_RSRC2:TIDIG_COMP_CNT: 1
	.section	.AMDGPU.gpr_maximums,"",@progbits
	.set amdgpu.max_num_vgpr, 0
	.set amdgpu.max_num_agpr, 0
	.set amdgpu.max_num_sgpr, 0
	.section	.AMDGPU.csdata,"",@progbits
	.type	__hip_cuid_efdd6b3a6676dd92,@object ; @__hip_cuid_efdd6b3a6676dd92
	.section	.bss,"aw",@nobits
	.globl	__hip_cuid_efdd6b3a6676dd92
__hip_cuid_efdd6b3a6676dd92:
	.byte	0                               ; 0x0
	.size	__hip_cuid_efdd6b3a6676dd92, 1

	.ident	"AMD clang version 22.0.0git (https://github.com/RadeonOpenCompute/llvm-project roc-7.2.4 26084 f58b06dce1f9c15707c5f808fd002e18c2accf7e)"
	.section	".note.GNU-stack","",@progbits
	.addrsig
	.addrsig_sym __hip_cuid_efdd6b3a6676dd92
	.amdgpu_metadata
---
amdhsa.kernels:
  - .args:
      - .address_space:  global
        .offset:         0
        .size:           8
        .value_kind:     global_buffer
      - .address_space:  global
        .offset:         8
        .size:           8
        .value_kind:     global_buffer
      - .address_space:  global
        .offset:         16
        .size:           8
        .value_kind:     global_buffer
      - .address_space:  global
        .offset:         24
        .size:           8
        .value_kind:     global_buffer
      - .address_space:  global
        .offset:         32
        .size:           8
        .value_kind:     global_buffer
      - .address_space:  global
        .offset:         40
        .size:           8
        .value_kind:     global_buffer
      - .address_space:  global
        .offset:         48
        .size:           8
        .value_kind:     global_buffer
      - .offset:         56
        .size:           8
        .value_kind:     by_value
      - .offset:         64
        .size:           8
        .value_kind:     by_value
      - .offset:         72
        .size:           8
        .value_kind:     by_value
      - .offset:         80
        .size:           8
        .value_kind:     by_value
      - .offset:         88
        .size:           8
        .value_kind:     by_value
      - .offset:         96
        .size:           8
        .value_kind:     by_value
      - .offset:         104
        .size:           8
        .value_kind:     by_value
      - .offset:         112
        .size:           8
        .value_kind:     by_value
      - .offset:         120
        .size:           8
        .value_kind:     by_value
      - .offset:         128
        .size:           8
        .value_kind:     by_value
      - .offset:         136
        .size:           8
        .value_kind:     by_value
      - .offset:         144
        .size:           8
        .value_kind:     by_value
      - .offset:         152
        .size:           12
        .value_kind:     by_value
      - .offset:         164
        .size:           12
        .value_kind:     by_value
      - .offset:         176
        .size:           4
        .value_kind:     by_value
      - .offset:         180
        .size:           4
        .value_kind:     by_value
      - .offset:         184
        .size:           4
        .value_kind:     hidden_block_count_x
      - .offset:         188
        .size:           4
        .value_kind:     hidden_block_count_y
      - .offset:         192
        .size:           4
        .value_kind:     hidden_block_count_z
      - .offset:         196
        .size:           2
        .value_kind:     hidden_group_size_x
      - .offset:         198
        .size:           2
        .value_kind:     hidden_group_size_y
      - .offset:         200
        .size:           2
        .value_kind:     hidden_group_size_z
      - .offset:         202
        .size:           2
        .value_kind:     hidden_remainder_x
      - .offset:         204
        .size:           2
        .value_kind:     hidden_remainder_y
      - .offset:         206
        .size:           2
        .value_kind:     hidden_remainder_z
      - .offset:         224
        .size:           8
        .value_kind:     hidden_global_offset_x
      - .offset:         232
        .size:           8
        .value_kind:     hidden_global_offset_y
      - .offset:         240
        .size:           8
        .value_kind:     hidden_global_offset_z
      - .offset:         248
        .size:           2
        .value_kind:     hidden_grid_dims
    .group_segment_fixed_size: 0
    .kernarg_segment_align: 8
    .kernarg_segment_size: 440
    .language:       OpenCL C
    .language_version:
      - 2
      - 0
    .max_flat_workgroup_size: 64
    .name:           _Z20gated_delta_net_cudaILi16ELb1ELb1EEvPKfS1_S1_S1_S1_S1_Pfllllllllllll15HIP_vector_typeIjLj3EES4_fi
    .private_segment_fixed_size: 0
    .sgpr_count:     56
    .sgpr_spill_count: 0
    .symbol:         _Z20gated_delta_net_cudaILi16ELb1ELb1EEvPKfS1_S1_S1_S1_S1_Pfllllllllllll15HIP_vector_typeIjLj3EES4_fi.kd
    .uniform_work_group_size: 1
    .uses_dynamic_stack: false
    .vgpr_count:     24
    .vgpr_spill_count: 0
    .wavefront_size: 32
  - .args:
      - .address_space:  global
        .offset:         0
        .size:           8
        .value_kind:     global_buffer
      - .address_space:  global
        .offset:         8
        .size:           8
        .value_kind:     global_buffer
      - .address_space:  global
        .offset:         16
        .size:           8
        .value_kind:     global_buffer
      - .address_space:  global
        .offset:         24
        .size:           8
        .value_kind:     global_buffer
      - .address_space:  global
        .offset:         32
        .size:           8
        .value_kind:     global_buffer
      - .address_space:  global
        .offset:         40
        .size:           8
        .value_kind:     global_buffer
      - .address_space:  global
        .offset:         48
        .size:           8
        .value_kind:     global_buffer
      - .offset:         56
        .size:           8
        .value_kind:     by_value
      - .offset:         64
        .size:           8
        .value_kind:     by_value
      - .offset:         72
        .size:           8
        .value_kind:     by_value
      - .offset:         80
        .size:           8
        .value_kind:     by_value
      - .offset:         88
        .size:           8
        .value_kind:     by_value
      - .offset:         96
        .size:           8
        .value_kind:     by_value
      - .offset:         104
        .size:           8
        .value_kind:     by_value
      - .offset:         112
        .size:           8
        .value_kind:     by_value
      - .offset:         120
        .size:           8
        .value_kind:     by_value
      - .offset:         128
        .size:           8
        .value_kind:     by_value
      - .offset:         136
        .size:           8
        .value_kind:     by_value
      - .offset:         144
        .size:           8
        .value_kind:     by_value
      - .offset:         152
        .size:           12
        .value_kind:     by_value
      - .offset:         164
        .size:           12
        .value_kind:     by_value
      - .offset:         176
        .size:           4
        .value_kind:     by_value
      - .offset:         180
        .size:           4
        .value_kind:     by_value
      - .offset:         184
        .size:           4
        .value_kind:     hidden_block_count_x
      - .offset:         188
        .size:           4
        .value_kind:     hidden_block_count_y
      - .offset:         192
        .size:           4
        .value_kind:     hidden_block_count_z
      - .offset:         196
        .size:           2
        .value_kind:     hidden_group_size_x
      - .offset:         198
        .size:           2
        .value_kind:     hidden_group_size_y
      - .offset:         200
        .size:           2
        .value_kind:     hidden_group_size_z
      - .offset:         202
        .size:           2
        .value_kind:     hidden_remainder_x
      - .offset:         204
        .size:           2
        .value_kind:     hidden_remainder_y
      - .offset:         206
        .size:           2
        .value_kind:     hidden_remainder_z
      - .offset:         224
        .size:           8
        .value_kind:     hidden_global_offset_x
      - .offset:         232
        .size:           8
        .value_kind:     hidden_global_offset_y
      - .offset:         240
        .size:           8
        .value_kind:     hidden_global_offset_z
      - .offset:         248
        .size:           2
        .value_kind:     hidden_grid_dims
    .group_segment_fixed_size: 0
    .kernarg_segment_align: 8
    .kernarg_segment_size: 440
    .language:       OpenCL C
    .language_version:
      - 2
      - 0
    .max_flat_workgroup_size: 128
    .name:           _Z20gated_delta_net_cudaILi32ELb1ELb1EEvPKfS1_S1_S1_S1_S1_Pfllllllllllll15HIP_vector_typeIjLj3EES4_fi
    .private_segment_fixed_size: 0
    .sgpr_count:     56
    .sgpr_spill_count: 0
    .symbol:         _Z20gated_delta_net_cudaILi32ELb1ELb1EEvPKfS1_S1_S1_S1_S1_Pfllllllllllll15HIP_vector_typeIjLj3EES4_fi.kd
    .uniform_work_group_size: 1
    .uses_dynamic_stack: false
    .vgpr_count:     25
    .vgpr_spill_count: 0
    .wavefront_size: 32
  - .args:
      - .address_space:  global
        .offset:         0
        .size:           8
        .value_kind:     global_buffer
      - .address_space:  global
        .offset:         8
        .size:           8
        .value_kind:     global_buffer
      - .address_space:  global
        .offset:         16
        .size:           8
        .value_kind:     global_buffer
      - .address_space:  global
        .offset:         24
        .size:           8
        .value_kind:     global_buffer
      - .address_space:  global
        .offset:         32
        .size:           8
        .value_kind:     global_buffer
      - .address_space:  global
        .offset:         40
        .size:           8
        .value_kind:     global_buffer
      - .address_space:  global
        .offset:         48
        .size:           8
        .value_kind:     global_buffer
      - .offset:         56
        .size:           8
        .value_kind:     by_value
      - .offset:         64
        .size:           8
        .value_kind:     by_value
      - .offset:         72
        .size:           8
        .value_kind:     by_value
      - .offset:         80
        .size:           8
        .value_kind:     by_value
      - .offset:         88
        .size:           8
        .value_kind:     by_value
      - .offset:         96
        .size:           8
        .value_kind:     by_value
      - .offset:         104
        .size:           8
        .value_kind:     by_value
      - .offset:         112
        .size:           8
        .value_kind:     by_value
      - .offset:         120
        .size:           8
        .value_kind:     by_value
      - .offset:         128
        .size:           8
        .value_kind:     by_value
      - .offset:         136
        .size:           8
        .value_kind:     by_value
      - .offset:         144
        .size:           8
        .value_kind:     by_value
      - .offset:         152
        .size:           12
        .value_kind:     by_value
      - .offset:         164
        .size:           12
        .value_kind:     by_value
      - .offset:         176
        .size:           4
        .value_kind:     by_value
      - .offset:         180
        .size:           4
        .value_kind:     by_value
      - .offset:         184
        .size:           4
        .value_kind:     hidden_block_count_x
      - .offset:         188
        .size:           4
        .value_kind:     hidden_block_count_y
      - .offset:         192
        .size:           4
        .value_kind:     hidden_block_count_z
      - .offset:         196
        .size:           2
        .value_kind:     hidden_group_size_x
      - .offset:         198
        .size:           2
        .value_kind:     hidden_group_size_y
      - .offset:         200
        .size:           2
        .value_kind:     hidden_group_size_z
      - .offset:         202
        .size:           2
        .value_kind:     hidden_remainder_x
      - .offset:         204
        .size:           2
        .value_kind:     hidden_remainder_y
      - .offset:         206
        .size:           2
        .value_kind:     hidden_remainder_z
      - .offset:         224
        .size:           8
        .value_kind:     hidden_global_offset_x
      - .offset:         232
        .size:           8
        .value_kind:     hidden_global_offset_y
      - .offset:         240
        .size:           8
        .value_kind:     hidden_global_offset_z
      - .offset:         248
        .size:           2
        .value_kind:     hidden_grid_dims
    .group_segment_fixed_size: 0
    .kernarg_segment_align: 8
    .kernarg_segment_size: 440
    .language:       OpenCL C
    .language_version:
      - 2
      - 0
    .max_flat_workgroup_size: 128
    .name:           _Z20gated_delta_net_cudaILi64ELb1ELb1EEvPKfS1_S1_S1_S1_S1_Pfllllllllllll15HIP_vector_typeIjLj3EES4_fi
    .private_segment_fixed_size: 0
    .sgpr_count:     58
    .sgpr_spill_count: 0
    .symbol:         _Z20gated_delta_net_cudaILi64ELb1ELb1EEvPKfS1_S1_S1_S1_S1_Pfllllllllllll15HIP_vector_typeIjLj3EES4_fi.kd
    .uniform_work_group_size: 1
    .uses_dynamic_stack: false
    .vgpr_count:     32
    .vgpr_spill_count: 0
    .wavefront_size: 32
  - .args:
      - .address_space:  global
        .offset:         0
        .size:           8
        .value_kind:     global_buffer
      - .address_space:  global
        .offset:         8
        .size:           8
        .value_kind:     global_buffer
      - .address_space:  global
        .offset:         16
        .size:           8
        .value_kind:     global_buffer
      - .address_space:  global
        .offset:         24
        .size:           8
        .value_kind:     global_buffer
      - .address_space:  global
        .offset:         32
        .size:           8
        .value_kind:     global_buffer
      - .address_space:  global
        .offset:         40
        .size:           8
        .value_kind:     global_buffer
      - .address_space:  global
        .offset:         48
        .size:           8
        .value_kind:     global_buffer
      - .offset:         56
        .size:           8
        .value_kind:     by_value
      - .offset:         64
        .size:           8
        .value_kind:     by_value
      - .offset:         72
        .size:           8
        .value_kind:     by_value
      - .offset:         80
        .size:           8
        .value_kind:     by_value
      - .offset:         88
        .size:           8
        .value_kind:     by_value
      - .offset:         96
        .size:           8
        .value_kind:     by_value
      - .offset:         104
        .size:           8
        .value_kind:     by_value
      - .offset:         112
        .size:           8
        .value_kind:     by_value
      - .offset:         120
        .size:           8
        .value_kind:     by_value
      - .offset:         128
        .size:           8
        .value_kind:     by_value
      - .offset:         136
        .size:           8
        .value_kind:     by_value
      - .offset:         144
        .size:           8
        .value_kind:     by_value
      - .offset:         152
        .size:           12
        .value_kind:     by_value
      - .offset:         164
        .size:           12
        .value_kind:     by_value
      - .offset:         176
        .size:           4
        .value_kind:     by_value
      - .offset:         180
        .size:           4
        .value_kind:     by_value
      - .offset:         184
        .size:           4
        .value_kind:     hidden_block_count_x
      - .offset:         188
        .size:           4
        .value_kind:     hidden_block_count_y
      - .offset:         192
        .size:           4
        .value_kind:     hidden_block_count_z
      - .offset:         196
        .size:           2
        .value_kind:     hidden_group_size_x
      - .offset:         198
        .size:           2
        .value_kind:     hidden_group_size_y
      - .offset:         200
        .size:           2
        .value_kind:     hidden_group_size_z
      - .offset:         202
        .size:           2
        .value_kind:     hidden_remainder_x
      - .offset:         204
        .size:           2
        .value_kind:     hidden_remainder_y
      - .offset:         206
        .size:           2
        .value_kind:     hidden_remainder_z
      - .offset:         224
        .size:           8
        .value_kind:     hidden_global_offset_x
      - .offset:         232
        .size:           8
        .value_kind:     hidden_global_offset_y
      - .offset:         240
        .size:           8
        .value_kind:     hidden_global_offset_z
      - .offset:         248
        .size:           2
        .value_kind:     hidden_grid_dims
    .group_segment_fixed_size: 0
    .kernarg_segment_align: 8
    .kernarg_segment_size: 440
    .language:       OpenCL C
    .language_version:
      - 2
      - 0
    .max_flat_workgroup_size: 128
    .name:           _Z20gated_delta_net_cudaILi128ELb1ELb1EEvPKfS1_S1_S1_S1_S1_Pfllllllllllll15HIP_vector_typeIjLj3EES4_fi
    .private_segment_fixed_size: 0
    .sgpr_count:     60
    .sgpr_spill_count: 0
    .symbol:         _Z20gated_delta_net_cudaILi128ELb1ELb1EEvPKfS1_S1_S1_S1_S1_Pfllllllllllll15HIP_vector_typeIjLj3EES4_fi.kd
    .uniform_work_group_size: 1
    .uses_dynamic_stack: false
    .vgpr_count:     43
    .vgpr_spill_count: 0
    .wavefront_size: 32
  - .args:
      - .address_space:  global
        .offset:         0
        .size:           8
        .value_kind:     global_buffer
      - .address_space:  global
        .offset:         8
        .size:           8
        .value_kind:     global_buffer
      - .address_space:  global
        .offset:         16
        .size:           8
        .value_kind:     global_buffer
      - .address_space:  global
        .offset:         24
        .size:           8
        .value_kind:     global_buffer
      - .address_space:  global
        .offset:         32
        .size:           8
        .value_kind:     global_buffer
      - .address_space:  global
        .offset:         40
        .size:           8
        .value_kind:     global_buffer
      - .address_space:  global
        .offset:         48
        .size:           8
        .value_kind:     global_buffer
      - .offset:         56
        .size:           8
        .value_kind:     by_value
      - .offset:         64
        .size:           8
        .value_kind:     by_value
      - .offset:         72
        .size:           8
        .value_kind:     by_value
      - .offset:         80
        .size:           8
        .value_kind:     by_value
      - .offset:         88
        .size:           8
        .value_kind:     by_value
      - .offset:         96
        .size:           8
        .value_kind:     by_value
      - .offset:         104
        .size:           8
        .value_kind:     by_value
      - .offset:         112
        .size:           8
        .value_kind:     by_value
      - .offset:         120
        .size:           8
        .value_kind:     by_value
      - .offset:         128
        .size:           8
        .value_kind:     by_value
      - .offset:         136
        .size:           8
        .value_kind:     by_value
      - .offset:         144
        .size:           8
        .value_kind:     by_value
      - .offset:         152
        .size:           12
        .value_kind:     by_value
      - .offset:         164
        .size:           12
        .value_kind:     by_value
      - .offset:         176
        .size:           4
        .value_kind:     by_value
      - .offset:         180
        .size:           4
        .value_kind:     by_value
      - .offset:         184
        .size:           4
        .value_kind:     hidden_block_count_x
      - .offset:         188
        .size:           4
        .value_kind:     hidden_block_count_y
      - .offset:         192
        .size:           4
        .value_kind:     hidden_block_count_z
      - .offset:         196
        .size:           2
        .value_kind:     hidden_group_size_x
      - .offset:         198
        .size:           2
        .value_kind:     hidden_group_size_y
      - .offset:         200
        .size:           2
        .value_kind:     hidden_group_size_z
      - .offset:         202
        .size:           2
        .value_kind:     hidden_remainder_x
      - .offset:         204
        .size:           2
        .value_kind:     hidden_remainder_y
      - .offset:         206
        .size:           2
        .value_kind:     hidden_remainder_z
      - .offset:         224
        .size:           8
        .value_kind:     hidden_global_offset_x
      - .offset:         232
        .size:           8
        .value_kind:     hidden_global_offset_y
      - .offset:         240
        .size:           8
        .value_kind:     hidden_global_offset_z
      - .offset:         248
        .size:           2
        .value_kind:     hidden_grid_dims
    .group_segment_fixed_size: 0
    .kernarg_segment_align: 8
    .kernarg_segment_size: 440
    .language:       OpenCL C
    .language_version:
      - 2
      - 0
    .max_flat_workgroup_size: 64
    .name:           _Z20gated_delta_net_cudaILi16ELb1ELb0EEvPKfS1_S1_S1_S1_S1_Pfllllllllllll15HIP_vector_typeIjLj3EES4_fi
    .private_segment_fixed_size: 0
    .sgpr_count:     60
    .sgpr_spill_count: 0
    .symbol:         _Z20gated_delta_net_cudaILi16ELb1ELb0EEvPKfS1_S1_S1_S1_S1_Pfllllllllllll15HIP_vector_typeIjLj3EES4_fi.kd
    .uniform_work_group_size: 1
    .uses_dynamic_stack: false
    .vgpr_count:     24
    .vgpr_spill_count: 0
    .wavefront_size: 32
  - .args:
      - .address_space:  global
        .offset:         0
        .size:           8
        .value_kind:     global_buffer
      - .address_space:  global
        .offset:         8
        .size:           8
        .value_kind:     global_buffer
      - .address_space:  global
        .offset:         16
        .size:           8
        .value_kind:     global_buffer
      - .address_space:  global
        .offset:         24
        .size:           8
        .value_kind:     global_buffer
      - .address_space:  global
        .offset:         32
        .size:           8
        .value_kind:     global_buffer
      - .address_space:  global
        .offset:         40
        .size:           8
        .value_kind:     global_buffer
      - .address_space:  global
        .offset:         48
        .size:           8
        .value_kind:     global_buffer
      - .offset:         56
        .size:           8
        .value_kind:     by_value
      - .offset:         64
        .size:           8
        .value_kind:     by_value
      - .offset:         72
        .size:           8
        .value_kind:     by_value
      - .offset:         80
        .size:           8
        .value_kind:     by_value
      - .offset:         88
        .size:           8
        .value_kind:     by_value
      - .offset:         96
        .size:           8
        .value_kind:     by_value
      - .offset:         104
        .size:           8
        .value_kind:     by_value
      - .offset:         112
        .size:           8
        .value_kind:     by_value
      - .offset:         120
        .size:           8
        .value_kind:     by_value
      - .offset:         128
        .size:           8
        .value_kind:     by_value
      - .offset:         136
        .size:           8
        .value_kind:     by_value
      - .offset:         144
        .size:           8
        .value_kind:     by_value
      - .offset:         152
        .size:           12
        .value_kind:     by_value
      - .offset:         164
        .size:           12
        .value_kind:     by_value
      - .offset:         176
        .size:           4
        .value_kind:     by_value
      - .offset:         180
        .size:           4
        .value_kind:     by_value
      - .offset:         184
        .size:           4
        .value_kind:     hidden_block_count_x
      - .offset:         188
        .size:           4
        .value_kind:     hidden_block_count_y
      - .offset:         192
        .size:           4
        .value_kind:     hidden_block_count_z
      - .offset:         196
        .size:           2
        .value_kind:     hidden_group_size_x
      - .offset:         198
        .size:           2
        .value_kind:     hidden_group_size_y
      - .offset:         200
        .size:           2
        .value_kind:     hidden_group_size_z
      - .offset:         202
        .size:           2
        .value_kind:     hidden_remainder_x
      - .offset:         204
        .size:           2
        .value_kind:     hidden_remainder_y
      - .offset:         206
        .size:           2
        .value_kind:     hidden_remainder_z
      - .offset:         224
        .size:           8
        .value_kind:     hidden_global_offset_x
      - .offset:         232
        .size:           8
        .value_kind:     hidden_global_offset_y
      - .offset:         240
        .size:           8
        .value_kind:     hidden_global_offset_z
      - .offset:         248
        .size:           2
        .value_kind:     hidden_grid_dims
    .group_segment_fixed_size: 0
    .kernarg_segment_align: 8
    .kernarg_segment_size: 440
    .language:       OpenCL C
    .language_version:
      - 2
      - 0
    .max_flat_workgroup_size: 128
    .name:           _Z20gated_delta_net_cudaILi32ELb1ELb0EEvPKfS1_S1_S1_S1_S1_Pfllllllllllll15HIP_vector_typeIjLj3EES4_fi
    .private_segment_fixed_size: 0
    .sgpr_count:     62
    .sgpr_spill_count: 0
    .symbol:         _Z20gated_delta_net_cudaILi32ELb1ELb0EEvPKfS1_S1_S1_S1_S1_Pfllllllllllll15HIP_vector_typeIjLj3EES4_fi.kd
    .uniform_work_group_size: 1
    .uses_dynamic_stack: false
    .vgpr_count:     25
    .vgpr_spill_count: 0
    .wavefront_size: 32
  - .args:
      - .address_space:  global
        .offset:         0
        .size:           8
        .value_kind:     global_buffer
      - .address_space:  global
        .offset:         8
        .size:           8
        .value_kind:     global_buffer
      - .address_space:  global
        .offset:         16
        .size:           8
        .value_kind:     global_buffer
      - .address_space:  global
        .offset:         24
        .size:           8
        .value_kind:     global_buffer
      - .address_space:  global
        .offset:         32
        .size:           8
        .value_kind:     global_buffer
      - .address_space:  global
        .offset:         40
        .size:           8
        .value_kind:     global_buffer
      - .address_space:  global
        .offset:         48
        .size:           8
        .value_kind:     global_buffer
      - .offset:         56
        .size:           8
        .value_kind:     by_value
      - .offset:         64
        .size:           8
        .value_kind:     by_value
      - .offset:         72
        .size:           8
        .value_kind:     by_value
      - .offset:         80
        .size:           8
        .value_kind:     by_value
      - .offset:         88
        .size:           8
        .value_kind:     by_value
      - .offset:         96
        .size:           8
        .value_kind:     by_value
      - .offset:         104
        .size:           8
        .value_kind:     by_value
      - .offset:         112
        .size:           8
        .value_kind:     by_value
      - .offset:         120
        .size:           8
        .value_kind:     by_value
      - .offset:         128
        .size:           8
        .value_kind:     by_value
      - .offset:         136
        .size:           8
        .value_kind:     by_value
      - .offset:         144
        .size:           8
        .value_kind:     by_value
      - .offset:         152
        .size:           12
        .value_kind:     by_value
      - .offset:         164
        .size:           12
        .value_kind:     by_value
      - .offset:         176
        .size:           4
        .value_kind:     by_value
      - .offset:         180
        .size:           4
        .value_kind:     by_value
      - .offset:         184
        .size:           4
        .value_kind:     hidden_block_count_x
      - .offset:         188
        .size:           4
        .value_kind:     hidden_block_count_y
      - .offset:         192
        .size:           4
        .value_kind:     hidden_block_count_z
      - .offset:         196
        .size:           2
        .value_kind:     hidden_group_size_x
      - .offset:         198
        .size:           2
        .value_kind:     hidden_group_size_y
      - .offset:         200
        .size:           2
        .value_kind:     hidden_group_size_z
      - .offset:         202
        .size:           2
        .value_kind:     hidden_remainder_x
      - .offset:         204
        .size:           2
        .value_kind:     hidden_remainder_y
      - .offset:         206
        .size:           2
        .value_kind:     hidden_remainder_z
      - .offset:         224
        .size:           8
        .value_kind:     hidden_global_offset_x
      - .offset:         232
        .size:           8
        .value_kind:     hidden_global_offset_y
      - .offset:         240
        .size:           8
        .value_kind:     hidden_global_offset_z
      - .offset:         248
        .size:           2
        .value_kind:     hidden_grid_dims
    .group_segment_fixed_size: 0
    .kernarg_segment_align: 8
    .kernarg_segment_size: 440
    .language:       OpenCL C
    .language_version:
      - 2
      - 0
    .max_flat_workgroup_size: 128
    .name:           _Z20gated_delta_net_cudaILi64ELb1ELb0EEvPKfS1_S1_S1_S1_S1_Pfllllllllllll15HIP_vector_typeIjLj3EES4_fi
    .private_segment_fixed_size: 0
    .sgpr_count:     60
    .sgpr_spill_count: 0
    .symbol:         _Z20gated_delta_net_cudaILi64ELb1ELb0EEvPKfS1_S1_S1_S1_S1_Pfllllllllllll15HIP_vector_typeIjLj3EES4_fi.kd
    .uniform_work_group_size: 1
    .uses_dynamic_stack: false
    .vgpr_count:     32
    .vgpr_spill_count: 0
    .wavefront_size: 32
  - .args:
      - .address_space:  global
        .offset:         0
        .size:           8
        .value_kind:     global_buffer
      - .address_space:  global
        .offset:         8
        .size:           8
        .value_kind:     global_buffer
      - .address_space:  global
        .offset:         16
        .size:           8
        .value_kind:     global_buffer
      - .address_space:  global
        .offset:         24
        .size:           8
        .value_kind:     global_buffer
      - .address_space:  global
        .offset:         32
        .size:           8
        .value_kind:     global_buffer
      - .address_space:  global
        .offset:         40
        .size:           8
        .value_kind:     global_buffer
      - .address_space:  global
        .offset:         48
        .size:           8
        .value_kind:     global_buffer
      - .offset:         56
        .size:           8
        .value_kind:     by_value
      - .offset:         64
        .size:           8
        .value_kind:     by_value
      - .offset:         72
        .size:           8
        .value_kind:     by_value
      - .offset:         80
        .size:           8
        .value_kind:     by_value
      - .offset:         88
        .size:           8
        .value_kind:     by_value
      - .offset:         96
        .size:           8
        .value_kind:     by_value
      - .offset:         104
        .size:           8
        .value_kind:     by_value
      - .offset:         112
        .size:           8
        .value_kind:     by_value
      - .offset:         120
        .size:           8
        .value_kind:     by_value
      - .offset:         128
        .size:           8
        .value_kind:     by_value
      - .offset:         136
        .size:           8
        .value_kind:     by_value
      - .offset:         144
        .size:           8
        .value_kind:     by_value
      - .offset:         152
        .size:           12
        .value_kind:     by_value
      - .offset:         164
        .size:           12
        .value_kind:     by_value
      - .offset:         176
        .size:           4
        .value_kind:     by_value
      - .offset:         180
        .size:           4
        .value_kind:     by_value
      - .offset:         184
        .size:           4
        .value_kind:     hidden_block_count_x
      - .offset:         188
        .size:           4
        .value_kind:     hidden_block_count_y
      - .offset:         192
        .size:           4
        .value_kind:     hidden_block_count_z
      - .offset:         196
        .size:           2
        .value_kind:     hidden_group_size_x
      - .offset:         198
        .size:           2
        .value_kind:     hidden_group_size_y
      - .offset:         200
        .size:           2
        .value_kind:     hidden_group_size_z
      - .offset:         202
        .size:           2
        .value_kind:     hidden_remainder_x
      - .offset:         204
        .size:           2
        .value_kind:     hidden_remainder_y
      - .offset:         206
        .size:           2
        .value_kind:     hidden_remainder_z
      - .offset:         224
        .size:           8
        .value_kind:     hidden_global_offset_x
      - .offset:         232
        .size:           8
        .value_kind:     hidden_global_offset_y
      - .offset:         240
        .size:           8
        .value_kind:     hidden_global_offset_z
      - .offset:         248
        .size:           2
        .value_kind:     hidden_grid_dims
    .group_segment_fixed_size: 0
    .kernarg_segment_align: 8
    .kernarg_segment_size: 440
    .language:       OpenCL C
    .language_version:
      - 2
      - 0
    .max_flat_workgroup_size: 128
    .name:           _Z20gated_delta_net_cudaILi128ELb1ELb0EEvPKfS1_S1_S1_S1_S1_Pfllllllllllll15HIP_vector_typeIjLj3EES4_fi
    .private_segment_fixed_size: 0
    .sgpr_count:     60
    .sgpr_spill_count: 0
    .symbol:         _Z20gated_delta_net_cudaILi128ELb1ELb0EEvPKfS1_S1_S1_S1_S1_Pfllllllllllll15HIP_vector_typeIjLj3EES4_fi.kd
    .uniform_work_group_size: 1
    .uses_dynamic_stack: false
    .vgpr_count:     43
    .vgpr_spill_count: 0
    .wavefront_size: 32
  - .args:
      - .address_space:  global
        .offset:         0
        .size:           8
        .value_kind:     global_buffer
      - .address_space:  global
        .offset:         8
        .size:           8
        .value_kind:     global_buffer
      - .address_space:  global
        .offset:         16
        .size:           8
        .value_kind:     global_buffer
      - .address_space:  global
        .offset:         24
        .size:           8
        .value_kind:     global_buffer
      - .address_space:  global
        .offset:         32
        .size:           8
        .value_kind:     global_buffer
      - .address_space:  global
        .offset:         40
        .size:           8
        .value_kind:     global_buffer
      - .address_space:  global
        .offset:         48
        .size:           8
        .value_kind:     global_buffer
      - .offset:         56
        .size:           8
        .value_kind:     by_value
      - .offset:         64
        .size:           8
        .value_kind:     by_value
      - .offset:         72
        .size:           8
        .value_kind:     by_value
      - .offset:         80
        .size:           8
        .value_kind:     by_value
      - .offset:         88
        .size:           8
        .value_kind:     by_value
      - .offset:         96
        .size:           8
        .value_kind:     by_value
      - .offset:         104
        .size:           8
        .value_kind:     by_value
      - .offset:         112
        .size:           8
        .value_kind:     by_value
      - .offset:         120
        .size:           8
        .value_kind:     by_value
      - .offset:         128
        .size:           8
        .value_kind:     by_value
      - .offset:         136
        .size:           8
        .value_kind:     by_value
      - .offset:         144
        .size:           8
        .value_kind:     by_value
      - .offset:         152
        .size:           12
        .value_kind:     by_value
      - .offset:         164
        .size:           12
        .value_kind:     by_value
      - .offset:         176
        .size:           4
        .value_kind:     by_value
      - .offset:         180
        .size:           4
        .value_kind:     by_value
      - .offset:         184
        .size:           4
        .value_kind:     hidden_block_count_x
      - .offset:         188
        .size:           4
        .value_kind:     hidden_block_count_y
      - .offset:         192
        .size:           4
        .value_kind:     hidden_block_count_z
      - .offset:         196
        .size:           2
        .value_kind:     hidden_group_size_x
      - .offset:         198
        .size:           2
        .value_kind:     hidden_group_size_y
      - .offset:         200
        .size:           2
        .value_kind:     hidden_group_size_z
      - .offset:         202
        .size:           2
        .value_kind:     hidden_remainder_x
      - .offset:         204
        .size:           2
        .value_kind:     hidden_remainder_y
      - .offset:         206
        .size:           2
        .value_kind:     hidden_remainder_z
      - .offset:         224
        .size:           8
        .value_kind:     hidden_global_offset_x
      - .offset:         232
        .size:           8
        .value_kind:     hidden_global_offset_y
      - .offset:         240
        .size:           8
        .value_kind:     hidden_global_offset_z
      - .offset:         248
        .size:           2
        .value_kind:     hidden_grid_dims
    .group_segment_fixed_size: 0
    .kernarg_segment_align: 8
    .kernarg_segment_size: 440
    .language:       OpenCL C
    .language_version:
      - 2
      - 0
    .max_flat_workgroup_size: 64
    .name:           _Z20gated_delta_net_cudaILi16ELb0ELb1EEvPKfS1_S1_S1_S1_S1_Pfllllllllllll15HIP_vector_typeIjLj3EES4_fi
    .private_segment_fixed_size: 0
    .sgpr_count:     56
    .sgpr_spill_count: 0
    .symbol:         _Z20gated_delta_net_cudaILi16ELb0ELb1EEvPKfS1_S1_S1_S1_S1_Pfllllllllllll15HIP_vector_typeIjLj3EES4_fi.kd
    .uniform_work_group_size: 1
    .uses_dynamic_stack: false
    .vgpr_count:     22
    .vgpr_spill_count: 0
    .wavefront_size: 32
  - .args:
      - .address_space:  global
        .offset:         0
        .size:           8
        .value_kind:     global_buffer
      - .address_space:  global
        .offset:         8
        .size:           8
        .value_kind:     global_buffer
      - .address_space:  global
        .offset:         16
        .size:           8
        .value_kind:     global_buffer
      - .address_space:  global
        .offset:         24
        .size:           8
        .value_kind:     global_buffer
      - .address_space:  global
        .offset:         32
        .size:           8
        .value_kind:     global_buffer
      - .address_space:  global
        .offset:         40
        .size:           8
        .value_kind:     global_buffer
      - .address_space:  global
        .offset:         48
        .size:           8
        .value_kind:     global_buffer
      - .offset:         56
        .size:           8
        .value_kind:     by_value
      - .offset:         64
        .size:           8
        .value_kind:     by_value
      - .offset:         72
        .size:           8
        .value_kind:     by_value
      - .offset:         80
        .size:           8
        .value_kind:     by_value
      - .offset:         88
        .size:           8
        .value_kind:     by_value
      - .offset:         96
        .size:           8
        .value_kind:     by_value
      - .offset:         104
        .size:           8
        .value_kind:     by_value
      - .offset:         112
        .size:           8
        .value_kind:     by_value
      - .offset:         120
        .size:           8
        .value_kind:     by_value
      - .offset:         128
        .size:           8
        .value_kind:     by_value
      - .offset:         136
        .size:           8
        .value_kind:     by_value
      - .offset:         144
        .size:           8
        .value_kind:     by_value
      - .offset:         152
        .size:           12
        .value_kind:     by_value
      - .offset:         164
        .size:           12
        .value_kind:     by_value
      - .offset:         176
        .size:           4
        .value_kind:     by_value
      - .offset:         180
        .size:           4
        .value_kind:     by_value
      - .offset:         184
        .size:           4
        .value_kind:     hidden_block_count_x
      - .offset:         188
        .size:           4
        .value_kind:     hidden_block_count_y
      - .offset:         192
        .size:           4
        .value_kind:     hidden_block_count_z
      - .offset:         196
        .size:           2
        .value_kind:     hidden_group_size_x
      - .offset:         198
        .size:           2
        .value_kind:     hidden_group_size_y
      - .offset:         200
        .size:           2
        .value_kind:     hidden_group_size_z
      - .offset:         202
        .size:           2
        .value_kind:     hidden_remainder_x
      - .offset:         204
        .size:           2
        .value_kind:     hidden_remainder_y
      - .offset:         206
        .size:           2
        .value_kind:     hidden_remainder_z
      - .offset:         224
        .size:           8
        .value_kind:     hidden_global_offset_x
      - .offset:         232
        .size:           8
        .value_kind:     hidden_global_offset_y
      - .offset:         240
        .size:           8
        .value_kind:     hidden_global_offset_z
      - .offset:         248
        .size:           2
        .value_kind:     hidden_grid_dims
    .group_segment_fixed_size: 0
    .kernarg_segment_align: 8
    .kernarg_segment_size: 440
    .language:       OpenCL C
    .language_version:
      - 2
      - 0
    .max_flat_workgroup_size: 128
    .name:           _Z20gated_delta_net_cudaILi32ELb0ELb1EEvPKfS1_S1_S1_S1_S1_Pfllllllllllll15HIP_vector_typeIjLj3EES4_fi
    .private_segment_fixed_size: 0
    .sgpr_count:     56
    .sgpr_spill_count: 0
    .symbol:         _Z20gated_delta_net_cudaILi32ELb0ELb1EEvPKfS1_S1_S1_S1_S1_Pfllllllllllll15HIP_vector_typeIjLj3EES4_fi.kd
    .uniform_work_group_size: 1
    .uses_dynamic_stack: false
    .vgpr_count:     23
    .vgpr_spill_count: 0
    .wavefront_size: 32
  - .args:
      - .address_space:  global
        .offset:         0
        .size:           8
        .value_kind:     global_buffer
      - .address_space:  global
        .offset:         8
        .size:           8
        .value_kind:     global_buffer
      - .address_space:  global
        .offset:         16
        .size:           8
        .value_kind:     global_buffer
      - .address_space:  global
        .offset:         24
        .size:           8
        .value_kind:     global_buffer
      - .address_space:  global
        .offset:         32
        .size:           8
        .value_kind:     global_buffer
      - .address_space:  global
        .offset:         40
        .size:           8
        .value_kind:     global_buffer
      - .address_space:  global
        .offset:         48
        .size:           8
        .value_kind:     global_buffer
      - .offset:         56
        .size:           8
        .value_kind:     by_value
      - .offset:         64
        .size:           8
        .value_kind:     by_value
      - .offset:         72
        .size:           8
        .value_kind:     by_value
      - .offset:         80
        .size:           8
        .value_kind:     by_value
      - .offset:         88
        .size:           8
        .value_kind:     by_value
      - .offset:         96
        .size:           8
        .value_kind:     by_value
      - .offset:         104
        .size:           8
        .value_kind:     by_value
      - .offset:         112
        .size:           8
        .value_kind:     by_value
      - .offset:         120
        .size:           8
        .value_kind:     by_value
      - .offset:         128
        .size:           8
        .value_kind:     by_value
      - .offset:         136
        .size:           8
        .value_kind:     by_value
      - .offset:         144
        .size:           8
        .value_kind:     by_value
      - .offset:         152
        .size:           12
        .value_kind:     by_value
      - .offset:         164
        .size:           12
        .value_kind:     by_value
      - .offset:         176
        .size:           4
        .value_kind:     by_value
      - .offset:         180
        .size:           4
        .value_kind:     by_value
      - .offset:         184
        .size:           4
        .value_kind:     hidden_block_count_x
      - .offset:         188
        .size:           4
        .value_kind:     hidden_block_count_y
      - .offset:         192
        .size:           4
        .value_kind:     hidden_block_count_z
      - .offset:         196
        .size:           2
        .value_kind:     hidden_group_size_x
      - .offset:         198
        .size:           2
        .value_kind:     hidden_group_size_y
      - .offset:         200
        .size:           2
        .value_kind:     hidden_group_size_z
      - .offset:         202
        .size:           2
        .value_kind:     hidden_remainder_x
      - .offset:         204
        .size:           2
        .value_kind:     hidden_remainder_y
      - .offset:         206
        .size:           2
        .value_kind:     hidden_remainder_z
      - .offset:         224
        .size:           8
        .value_kind:     hidden_global_offset_x
      - .offset:         232
        .size:           8
        .value_kind:     hidden_global_offset_y
      - .offset:         240
        .size:           8
        .value_kind:     hidden_global_offset_z
      - .offset:         248
        .size:           2
        .value_kind:     hidden_grid_dims
    .group_segment_fixed_size: 0
    .kernarg_segment_align: 8
    .kernarg_segment_size: 440
    .language:       OpenCL C
    .language_version:
      - 2
      - 0
    .max_flat_workgroup_size: 128
    .name:           _Z20gated_delta_net_cudaILi64ELb0ELb1EEvPKfS1_S1_S1_S1_S1_Pfllllllllllll15HIP_vector_typeIjLj3EES4_fi
    .private_segment_fixed_size: 0
    .sgpr_count:     58
    .sgpr_spill_count: 0
    .symbol:         _Z20gated_delta_net_cudaILi64ELb0ELb1EEvPKfS1_S1_S1_S1_S1_Pfllllllllllll15HIP_vector_typeIjLj3EES4_fi.kd
    .uniform_work_group_size: 1
    .uses_dynamic_stack: false
    .vgpr_count:     25
    .vgpr_spill_count: 0
    .wavefront_size: 32
  - .args:
      - .address_space:  global
        .offset:         0
        .size:           8
        .value_kind:     global_buffer
      - .address_space:  global
        .offset:         8
        .size:           8
        .value_kind:     global_buffer
      - .address_space:  global
        .offset:         16
        .size:           8
        .value_kind:     global_buffer
      - .address_space:  global
        .offset:         24
        .size:           8
        .value_kind:     global_buffer
      - .address_space:  global
        .offset:         32
        .size:           8
        .value_kind:     global_buffer
      - .address_space:  global
        .offset:         40
        .size:           8
        .value_kind:     global_buffer
      - .address_space:  global
        .offset:         48
        .size:           8
        .value_kind:     global_buffer
      - .offset:         56
        .size:           8
        .value_kind:     by_value
      - .offset:         64
        .size:           8
        .value_kind:     by_value
      - .offset:         72
        .size:           8
        .value_kind:     by_value
      - .offset:         80
        .size:           8
        .value_kind:     by_value
      - .offset:         88
        .size:           8
        .value_kind:     by_value
      - .offset:         96
        .size:           8
        .value_kind:     by_value
      - .offset:         104
        .size:           8
        .value_kind:     by_value
      - .offset:         112
        .size:           8
        .value_kind:     by_value
      - .offset:         120
        .size:           8
        .value_kind:     by_value
      - .offset:         128
        .size:           8
        .value_kind:     by_value
      - .offset:         136
        .size:           8
        .value_kind:     by_value
      - .offset:         144
        .size:           8
        .value_kind:     by_value
      - .offset:         152
        .size:           12
        .value_kind:     by_value
      - .offset:         164
        .size:           12
        .value_kind:     by_value
      - .offset:         176
        .size:           4
        .value_kind:     by_value
      - .offset:         180
        .size:           4
        .value_kind:     by_value
      - .offset:         184
        .size:           4
        .value_kind:     hidden_block_count_x
      - .offset:         188
        .size:           4
        .value_kind:     hidden_block_count_y
      - .offset:         192
        .size:           4
        .value_kind:     hidden_block_count_z
      - .offset:         196
        .size:           2
        .value_kind:     hidden_group_size_x
      - .offset:         198
        .size:           2
        .value_kind:     hidden_group_size_y
      - .offset:         200
        .size:           2
        .value_kind:     hidden_group_size_z
      - .offset:         202
        .size:           2
        .value_kind:     hidden_remainder_x
      - .offset:         204
        .size:           2
        .value_kind:     hidden_remainder_y
      - .offset:         206
        .size:           2
        .value_kind:     hidden_remainder_z
      - .offset:         224
        .size:           8
        .value_kind:     hidden_global_offset_x
      - .offset:         232
        .size:           8
        .value_kind:     hidden_global_offset_y
      - .offset:         240
        .size:           8
        .value_kind:     hidden_global_offset_z
      - .offset:         248
        .size:           2
        .value_kind:     hidden_grid_dims
    .group_segment_fixed_size: 0
    .kernarg_segment_align: 8
    .kernarg_segment_size: 440
    .language:       OpenCL C
    .language_version:
      - 2
      - 0
    .max_flat_workgroup_size: 128
    .name:           _Z20gated_delta_net_cudaILi128ELb0ELb1EEvPKfS1_S1_S1_S1_S1_Pfllllllllllll15HIP_vector_typeIjLj3EES4_fi
    .private_segment_fixed_size: 0
    .sgpr_count:     60
    .sgpr_spill_count: 0
    .symbol:         _Z20gated_delta_net_cudaILi128ELb0ELb1EEvPKfS1_S1_S1_S1_S1_Pfllllllllllll15HIP_vector_typeIjLj3EES4_fi.kd
    .uniform_work_group_size: 1
    .uses_dynamic_stack: false
    .vgpr_count:     32
    .vgpr_spill_count: 0
    .wavefront_size: 32
  - .args:
      - .address_space:  global
        .offset:         0
        .size:           8
        .value_kind:     global_buffer
      - .address_space:  global
        .offset:         8
        .size:           8
        .value_kind:     global_buffer
      - .address_space:  global
        .offset:         16
        .size:           8
        .value_kind:     global_buffer
      - .address_space:  global
        .offset:         24
        .size:           8
        .value_kind:     global_buffer
      - .address_space:  global
        .offset:         32
        .size:           8
        .value_kind:     global_buffer
      - .address_space:  global
        .offset:         40
        .size:           8
        .value_kind:     global_buffer
      - .address_space:  global
        .offset:         48
        .size:           8
        .value_kind:     global_buffer
      - .offset:         56
        .size:           8
        .value_kind:     by_value
      - .offset:         64
        .size:           8
        .value_kind:     by_value
      - .offset:         72
        .size:           8
        .value_kind:     by_value
      - .offset:         80
        .size:           8
        .value_kind:     by_value
      - .offset:         88
        .size:           8
        .value_kind:     by_value
      - .offset:         96
        .size:           8
        .value_kind:     by_value
      - .offset:         104
        .size:           8
        .value_kind:     by_value
      - .offset:         112
        .size:           8
        .value_kind:     by_value
      - .offset:         120
        .size:           8
        .value_kind:     by_value
      - .offset:         128
        .size:           8
        .value_kind:     by_value
      - .offset:         136
        .size:           8
        .value_kind:     by_value
      - .offset:         144
        .size:           8
        .value_kind:     by_value
      - .offset:         152
        .size:           12
        .value_kind:     by_value
      - .offset:         164
        .size:           12
        .value_kind:     by_value
      - .offset:         176
        .size:           4
        .value_kind:     by_value
      - .offset:         180
        .size:           4
        .value_kind:     by_value
      - .offset:         184
        .size:           4
        .value_kind:     hidden_block_count_x
      - .offset:         188
        .size:           4
        .value_kind:     hidden_block_count_y
      - .offset:         192
        .size:           4
        .value_kind:     hidden_block_count_z
      - .offset:         196
        .size:           2
        .value_kind:     hidden_group_size_x
      - .offset:         198
        .size:           2
        .value_kind:     hidden_group_size_y
      - .offset:         200
        .size:           2
        .value_kind:     hidden_group_size_z
      - .offset:         202
        .size:           2
        .value_kind:     hidden_remainder_x
      - .offset:         204
        .size:           2
        .value_kind:     hidden_remainder_y
      - .offset:         206
        .size:           2
        .value_kind:     hidden_remainder_z
      - .offset:         224
        .size:           8
        .value_kind:     hidden_global_offset_x
      - .offset:         232
        .size:           8
        .value_kind:     hidden_global_offset_y
      - .offset:         240
        .size:           8
        .value_kind:     hidden_global_offset_z
      - .offset:         248
        .size:           2
        .value_kind:     hidden_grid_dims
    .group_segment_fixed_size: 0
    .kernarg_segment_align: 8
    .kernarg_segment_size: 440
    .language:       OpenCL C
    .language_version:
      - 2
      - 0
    .max_flat_workgroup_size: 64
    .name:           _Z20gated_delta_net_cudaILi16ELb0ELb0EEvPKfS1_S1_S1_S1_S1_Pfllllllllllll15HIP_vector_typeIjLj3EES4_fi
    .private_segment_fixed_size: 0
    .sgpr_count:     60
    .sgpr_spill_count: 0
    .symbol:         _Z20gated_delta_net_cudaILi16ELb0ELb0EEvPKfS1_S1_S1_S1_S1_Pfllllllllllll15HIP_vector_typeIjLj3EES4_fi.kd
    .uniform_work_group_size: 1
    .uses_dynamic_stack: false
    .vgpr_count:     22
    .vgpr_spill_count: 0
    .wavefront_size: 32
  - .args:
      - .address_space:  global
        .offset:         0
        .size:           8
        .value_kind:     global_buffer
      - .address_space:  global
        .offset:         8
        .size:           8
        .value_kind:     global_buffer
      - .address_space:  global
        .offset:         16
        .size:           8
        .value_kind:     global_buffer
      - .address_space:  global
        .offset:         24
        .size:           8
        .value_kind:     global_buffer
      - .address_space:  global
        .offset:         32
        .size:           8
        .value_kind:     global_buffer
      - .address_space:  global
        .offset:         40
        .size:           8
        .value_kind:     global_buffer
      - .address_space:  global
        .offset:         48
        .size:           8
        .value_kind:     global_buffer
      - .offset:         56
        .size:           8
        .value_kind:     by_value
      - .offset:         64
        .size:           8
        .value_kind:     by_value
      - .offset:         72
        .size:           8
        .value_kind:     by_value
      - .offset:         80
        .size:           8
        .value_kind:     by_value
      - .offset:         88
        .size:           8
        .value_kind:     by_value
      - .offset:         96
        .size:           8
        .value_kind:     by_value
      - .offset:         104
        .size:           8
        .value_kind:     by_value
      - .offset:         112
        .size:           8
        .value_kind:     by_value
      - .offset:         120
        .size:           8
        .value_kind:     by_value
      - .offset:         128
        .size:           8
        .value_kind:     by_value
      - .offset:         136
        .size:           8
        .value_kind:     by_value
      - .offset:         144
        .size:           8
        .value_kind:     by_value
      - .offset:         152
        .size:           12
        .value_kind:     by_value
      - .offset:         164
        .size:           12
        .value_kind:     by_value
      - .offset:         176
        .size:           4
        .value_kind:     by_value
      - .offset:         180
        .size:           4
        .value_kind:     by_value
      - .offset:         184
        .size:           4
        .value_kind:     hidden_block_count_x
      - .offset:         188
        .size:           4
        .value_kind:     hidden_block_count_y
      - .offset:         192
        .size:           4
        .value_kind:     hidden_block_count_z
      - .offset:         196
        .size:           2
        .value_kind:     hidden_group_size_x
      - .offset:         198
        .size:           2
        .value_kind:     hidden_group_size_y
      - .offset:         200
        .size:           2
        .value_kind:     hidden_group_size_z
      - .offset:         202
        .size:           2
        .value_kind:     hidden_remainder_x
      - .offset:         204
        .size:           2
        .value_kind:     hidden_remainder_y
      - .offset:         206
        .size:           2
        .value_kind:     hidden_remainder_z
      - .offset:         224
        .size:           8
        .value_kind:     hidden_global_offset_x
      - .offset:         232
        .size:           8
        .value_kind:     hidden_global_offset_y
      - .offset:         240
        .size:           8
        .value_kind:     hidden_global_offset_z
      - .offset:         248
        .size:           2
        .value_kind:     hidden_grid_dims
    .group_segment_fixed_size: 0
    .kernarg_segment_align: 8
    .kernarg_segment_size: 440
    .language:       OpenCL C
    .language_version:
      - 2
      - 0
    .max_flat_workgroup_size: 128
    .name:           _Z20gated_delta_net_cudaILi32ELb0ELb0EEvPKfS1_S1_S1_S1_S1_Pfllllllllllll15HIP_vector_typeIjLj3EES4_fi
    .private_segment_fixed_size: 0
    .sgpr_count:     62
    .sgpr_spill_count: 0
    .symbol:         _Z20gated_delta_net_cudaILi32ELb0ELb0EEvPKfS1_S1_S1_S1_S1_Pfllllllllllll15HIP_vector_typeIjLj3EES4_fi.kd
    .uniform_work_group_size: 1
    .uses_dynamic_stack: false
    .vgpr_count:     23
    .vgpr_spill_count: 0
    .wavefront_size: 32
  - .args:
      - .address_space:  global
        .offset:         0
        .size:           8
        .value_kind:     global_buffer
      - .address_space:  global
        .offset:         8
        .size:           8
        .value_kind:     global_buffer
      - .address_space:  global
        .offset:         16
        .size:           8
        .value_kind:     global_buffer
      - .address_space:  global
        .offset:         24
        .size:           8
        .value_kind:     global_buffer
      - .address_space:  global
        .offset:         32
        .size:           8
        .value_kind:     global_buffer
      - .address_space:  global
        .offset:         40
        .size:           8
        .value_kind:     global_buffer
      - .address_space:  global
        .offset:         48
        .size:           8
        .value_kind:     global_buffer
      - .offset:         56
        .size:           8
        .value_kind:     by_value
      - .offset:         64
        .size:           8
        .value_kind:     by_value
      - .offset:         72
        .size:           8
        .value_kind:     by_value
      - .offset:         80
        .size:           8
        .value_kind:     by_value
      - .offset:         88
        .size:           8
        .value_kind:     by_value
      - .offset:         96
        .size:           8
        .value_kind:     by_value
      - .offset:         104
        .size:           8
        .value_kind:     by_value
      - .offset:         112
        .size:           8
        .value_kind:     by_value
      - .offset:         120
        .size:           8
        .value_kind:     by_value
      - .offset:         128
        .size:           8
        .value_kind:     by_value
      - .offset:         136
        .size:           8
        .value_kind:     by_value
      - .offset:         144
        .size:           8
        .value_kind:     by_value
      - .offset:         152
        .size:           12
        .value_kind:     by_value
      - .offset:         164
        .size:           12
        .value_kind:     by_value
      - .offset:         176
        .size:           4
        .value_kind:     by_value
      - .offset:         180
        .size:           4
        .value_kind:     by_value
      - .offset:         184
        .size:           4
        .value_kind:     hidden_block_count_x
      - .offset:         188
        .size:           4
        .value_kind:     hidden_block_count_y
      - .offset:         192
        .size:           4
        .value_kind:     hidden_block_count_z
      - .offset:         196
        .size:           2
        .value_kind:     hidden_group_size_x
      - .offset:         198
        .size:           2
        .value_kind:     hidden_group_size_y
      - .offset:         200
        .size:           2
        .value_kind:     hidden_group_size_z
      - .offset:         202
        .size:           2
        .value_kind:     hidden_remainder_x
      - .offset:         204
        .size:           2
        .value_kind:     hidden_remainder_y
      - .offset:         206
        .size:           2
        .value_kind:     hidden_remainder_z
      - .offset:         224
        .size:           8
        .value_kind:     hidden_global_offset_x
      - .offset:         232
        .size:           8
        .value_kind:     hidden_global_offset_y
      - .offset:         240
        .size:           8
        .value_kind:     hidden_global_offset_z
      - .offset:         248
        .size:           2
        .value_kind:     hidden_grid_dims
    .group_segment_fixed_size: 0
    .kernarg_segment_align: 8
    .kernarg_segment_size: 440
    .language:       OpenCL C
    .language_version:
      - 2
      - 0
    .max_flat_workgroup_size: 128
    .name:           _Z20gated_delta_net_cudaILi64ELb0ELb0EEvPKfS1_S1_S1_S1_S1_Pfllllllllllll15HIP_vector_typeIjLj3EES4_fi
    .private_segment_fixed_size: 0
    .sgpr_count:     62
    .sgpr_spill_count: 0
    .symbol:         _Z20gated_delta_net_cudaILi64ELb0ELb0EEvPKfS1_S1_S1_S1_S1_Pfllllllllllll15HIP_vector_typeIjLj3EES4_fi.kd
    .uniform_work_group_size: 1
    .uses_dynamic_stack: false
    .vgpr_count:     25
    .vgpr_spill_count: 0
    .wavefront_size: 32
  - .args:
      - .address_space:  global
        .offset:         0
        .size:           8
        .value_kind:     global_buffer
      - .address_space:  global
        .offset:         8
        .size:           8
        .value_kind:     global_buffer
      - .address_space:  global
        .offset:         16
        .size:           8
        .value_kind:     global_buffer
      - .address_space:  global
        .offset:         24
        .size:           8
        .value_kind:     global_buffer
      - .address_space:  global
        .offset:         32
        .size:           8
        .value_kind:     global_buffer
      - .address_space:  global
        .offset:         40
        .size:           8
        .value_kind:     global_buffer
      - .address_space:  global
        .offset:         48
        .size:           8
        .value_kind:     global_buffer
      - .offset:         56
        .size:           8
        .value_kind:     by_value
      - .offset:         64
        .size:           8
        .value_kind:     by_value
      - .offset:         72
        .size:           8
        .value_kind:     by_value
      - .offset:         80
        .size:           8
        .value_kind:     by_value
      - .offset:         88
        .size:           8
        .value_kind:     by_value
      - .offset:         96
        .size:           8
        .value_kind:     by_value
      - .offset:         104
        .size:           8
        .value_kind:     by_value
      - .offset:         112
        .size:           8
        .value_kind:     by_value
      - .offset:         120
        .size:           8
        .value_kind:     by_value
      - .offset:         128
        .size:           8
        .value_kind:     by_value
      - .offset:         136
        .size:           8
        .value_kind:     by_value
      - .offset:         144
        .size:           8
        .value_kind:     by_value
      - .offset:         152
        .size:           12
        .value_kind:     by_value
      - .offset:         164
        .size:           12
        .value_kind:     by_value
      - .offset:         176
        .size:           4
        .value_kind:     by_value
      - .offset:         180
        .size:           4
        .value_kind:     by_value
      - .offset:         184
        .size:           4
        .value_kind:     hidden_block_count_x
      - .offset:         188
        .size:           4
        .value_kind:     hidden_block_count_y
      - .offset:         192
        .size:           4
        .value_kind:     hidden_block_count_z
      - .offset:         196
        .size:           2
        .value_kind:     hidden_group_size_x
      - .offset:         198
        .size:           2
        .value_kind:     hidden_group_size_y
      - .offset:         200
        .size:           2
        .value_kind:     hidden_group_size_z
      - .offset:         202
        .size:           2
        .value_kind:     hidden_remainder_x
      - .offset:         204
        .size:           2
        .value_kind:     hidden_remainder_y
      - .offset:         206
        .size:           2
        .value_kind:     hidden_remainder_z
      - .offset:         224
        .size:           8
        .value_kind:     hidden_global_offset_x
      - .offset:         232
        .size:           8
        .value_kind:     hidden_global_offset_y
      - .offset:         240
        .size:           8
        .value_kind:     hidden_global_offset_z
      - .offset:         248
        .size:           2
        .value_kind:     hidden_grid_dims
    .group_segment_fixed_size: 0
    .kernarg_segment_align: 8
    .kernarg_segment_size: 440
    .language:       OpenCL C
    .language_version:
      - 2
      - 0
    .max_flat_workgroup_size: 128
    .name:           _Z20gated_delta_net_cudaILi128ELb0ELb0EEvPKfS1_S1_S1_S1_S1_Pfllllllllllll15HIP_vector_typeIjLj3EES4_fi
    .private_segment_fixed_size: 0
    .sgpr_count:     60
    .sgpr_spill_count: 0
    .symbol:         _Z20gated_delta_net_cudaILi128ELb0ELb0EEvPKfS1_S1_S1_S1_S1_Pfllllllllllll15HIP_vector_typeIjLj3EES4_fi.kd
    .uniform_work_group_size: 1
    .uses_dynamic_stack: false
    .vgpr_count:     32
    .vgpr_spill_count: 0
    .wavefront_size: 32
amdhsa.target:   amdgcn-amd-amdhsa--gfx1250
amdhsa.version:
  - 1
  - 2
...

	.end_amdgpu_metadata
